;; amdgpu-corpus repo=ROCm/rocFFT kind=compiled arch=gfx1030 opt=O3
	.text
	.amdgcn_target "amdgcn-amd-amdhsa--gfx1030"
	.amdhsa_code_object_version 6
	.protected	bluestein_single_fwd_len520_dim1_dp_op_CI_CI ; -- Begin function bluestein_single_fwd_len520_dim1_dp_op_CI_CI
	.globl	bluestein_single_fwd_len520_dim1_dp_op_CI_CI
	.p2align	8
	.type	bluestein_single_fwd_len520_dim1_dp_op_CI_CI,@function
bluestein_single_fwd_len520_dim1_dp_op_CI_CI: ; @bluestein_single_fwd_len520_dim1_dp_op_CI_CI
; %bb.0:
	s_load_dwordx4 s[0:3], s[4:5], 0x28
	v_mul_u32_u24_e32 v1, 0x4ed, v0
	v_mov_b32_e32 v141, 0
	v_lshrrev_b32_e32 v1, 16, v1
	v_add_nc_u32_e32 v140, s6, v1
	s_waitcnt lgkmcnt(0)
	v_cmp_gt_u64_e32 vcc_lo, s[0:1], v[140:141]
	s_and_saveexec_b32 s0, vcc_lo
	s_cbranch_execz .LBB0_23
; %bb.1:
	v_mul_lo_u16 v1, v1, 52
	s_clause 0x1
	s_load_dwordx2 s[14:15], s[4:5], 0x0
	s_load_dwordx2 s[12:13], s[4:5], 0x38
	v_sub_nc_u16 v0, v0, v1
	v_and_b32_e32 v231, 0xffff, v0
	v_cmp_gt_u16_e32 vcc_lo, 40, v0
	v_lshlrev_b32_e32 v229, 4, v231
	v_or_b32_e32 v230, 0x140, v231
	s_and_saveexec_b32 s1, vcc_lo
	s_cbranch_execz .LBB0_3
; %bb.2:
	s_load_dwordx2 s[6:7], s[4:5], 0x18
	s_waitcnt lgkmcnt(0)
	v_add_co_u32 v28, s0, s14, v229
	v_add_co_ci_u32_e64 v29, null, s15, 0, s0
	v_lshlrev_b32_e32 v24, 4, v230
	s_load_dwordx4 s[8:11], s[6:7], 0x0
	s_waitcnt lgkmcnt(0)
	v_mad_u64_u32 v[16:17], null, s10, v140, 0
	v_mad_u64_u32 v[18:19], null, s8, v231, 0
	s_mul_i32 s6, s9, 0x280
	s_mul_hi_u32 s7, s8, 0x280
	s_mul_i32 s10, s8, 0x280
	s_add_i32 s7, s7, s6
	v_mov_b32_e32 v0, v17
	v_mov_b32_e32 v1, v19
	v_mad_u64_u32 v[8:9], null, s11, v140, v[0:1]
	v_mad_u64_u32 v[19:20], null, s9, v231, v[1:2]
	;; [unrolled: 1-line block ×3, first 2 shown]
	s_clause 0x1
	global_load_dwordx4 v[0:3], v229, s[14:15]
	global_load_dwordx4 v[4:7], v229, s[14:15] offset:640
	v_mov_b32_e32 v17, v8
	s_clause 0x1
	global_load_dwordx4 v[8:11], v229, s[14:15] offset:1280
	global_load_dwordx4 v[12:15], v229, s[14:15] offset:1920
	v_lshlrev_b64 v[18:19], 4, v[18:19]
	v_lshlrev_b64 v[16:17], 4, v[16:17]
	v_add_co_u32 v26, s0, s2, v16
	v_add_co_ci_u32_e64 v27, s0, s3, v17, s0
	v_add_co_u32 v22, s0, v26, v18
	v_add_co_ci_u32_e64 v23, s0, v27, v19, s0
	global_load_dwordx4 v[16:19], v24, s[14:15]
	v_add_co_u32 v48, s0, v22, s10
	v_add_co_ci_u32_e64 v49, s0, s7, v23, s0
	v_mad_u64_u32 v[24:25], null, s9, v230, v[21:22]
	v_add_co_u32 v52, s0, v48, s10
	v_add_co_ci_u32_e64 v53, s0, s7, v49, s0
	v_add_co_u32 v56, s0, v52, s10
	v_add_co_ci_u32_e64 v57, s0, s7, v53, s0
	v_mov_b32_e32 v21, v24
	v_add_co_u32 v60, s0, v56, s10
	v_add_co_ci_u32_e64 v61, s0, s7, v57, s0
	v_add_co_u32 v36, s0, 0x800, v28
	v_add_co_ci_u32_e64 v37, s0, 0, v29, s0
	;; [unrolled: 2-line block ×3, first 2 shown]
	v_lshlrev_b64 v[20:21], 4, v[20:21]
	v_add_co_u32 v68, s0, v64, s10
	v_add_co_ci_u32_e64 v69, s0, s7, v65, s0
	v_add_co_u32 v72, s0, v68, s10
	v_add_co_ci_u32_e64 v73, s0, s7, v69, s0
	;; [unrolled: 2-line block ×3, first 2 shown]
	v_mad_u64_u32 v[76:77], null, 0x500, s8, v[72:73]
	s_clause 0x1
	global_load_dwordx4 v[20:23], v[22:23], off
	global_load_dwordx4 v[24:27], v[24:25], off
	v_add_co_u32 v44, s0, 0x1000, v28
	v_add_co_ci_u32_e64 v45, s0, 0, v29, s0
	v_add_co_u32 v96, s0, 0x1800, v28
	v_mov_b32_e32 v40, v77
	v_add_co_ci_u32_e64 v97, s0, 0, v29, s0
	v_add_co_u32 v80, s0, v76, s10
	v_mad_u64_u32 v[74:75], null, 0x500, s9, v[40:41]
	s_clause 0x4
	global_load_dwordx4 v[28:31], v[36:37], off offset:512
	global_load_dwordx4 v[32:35], v[36:37], off offset:1152
	;; [unrolled: 1-line block ×5, first 2 shown]
	s_clause 0x3
	global_load_dwordx4 v[48:51], v[48:49], off
	global_load_dwordx4 v[52:55], v[52:53], off
	;; [unrolled: 1-line block ×6, first 2 shown]
	v_mov_b32_e32 v77, v74
	global_load_dwordx4 v[72:75], v[72:73], off
	v_add_co_ci_u32_e64 v81, s0, s7, v77, s0
	v_add_co_u32 v92, s0, v80, s10
	global_load_dwordx4 v[76:79], v[76:77], off
	v_add_co_ci_u32_e64 v93, s0, s7, v81, s0
	v_add_co_u32 v100, s0, v92, s10
	global_load_dwordx4 v[80:83], v[80:81], off
	v_add_co_ci_u32_e64 v101, s0, s7, v93, s0
	s_clause 0x1
	global_load_dwordx4 v[84:87], v[96:97], off offset:256
	global_load_dwordx4 v[88:91], v[96:97], off offset:896
	global_load_dwordx4 v[92:95], v[92:93], off
	global_load_dwordx4 v[96:99], v[96:97], off offset:1536
	global_load_dwordx4 v[100:103], v[100:101], off
	s_waitcnt vmcnt(20)
	v_mul_f64 v[104:105], v[22:23], v[2:3]
	v_mul_f64 v[2:3], v[20:21], v[2:3]
	s_waitcnt vmcnt(19)
	v_mul_f64 v[108:109], v[24:25], v[18:19]
	v_mul_f64 v[106:107], v[26:27], v[18:19]
	;; [unrolled: 3-line block ×6, first 2 shown]
	v_fma_f64 v[18:19], v[20:21], v[0:1], v[104:105]
	v_fma_f64 v[20:21], v[22:23], v[0:1], -v[2:3]
	v_fma_f64 v[2:3], v[26:27], v[16:17], -v[108:109]
	s_waitcnt vmcnt(9)
	v_mul_f64 v[26:27], v[66:67], v[34:35]
	v_mul_f64 v[34:35], v[64:65], v[34:35]
	s_waitcnt vmcnt(8)
	v_mul_f64 v[104:105], v[70:71], v[38:39]
	v_mul_f64 v[38:39], v[68:69], v[38:39]
	v_fma_f64 v[0:1], v[24:25], v[16:17], v[106:107]
	s_waitcnt vmcnt(7)
	v_mul_f64 v[106:107], v[74:75], v[42:43]
	v_mul_f64 v[42:43], v[72:73], v[42:43]
	s_waitcnt vmcnt(6)
	v_mul_f64 v[108:109], v[78:79], v[46:47]
	v_mul_f64 v[46:47], v[76:77], v[46:47]
	v_fma_f64 v[14:15], v[48:49], v[4:5], v[110:111]
	s_waitcnt vmcnt(4)
	v_mul_f64 v[120:121], v[82:83], v[86:87]
	v_mul_f64 v[86:87], v[80:81], v[86:87]
	s_waitcnt vmcnt(2)
	v_mul_f64 v[122:123], v[94:95], v[90:91]
	v_mul_f64 v[90:91], v[92:93], v[90:91]
	;; [unrolled: 3-line block ×3, first 2 shown]
	v_fma_f64 v[16:17], v[50:51], v[4:5], -v[6:7]
	v_fma_f64 v[4:5], v[52:53], v[8:9], v[112:113]
	v_fma_f64 v[6:7], v[54:55], v[8:9], -v[10:11]
	v_fma_f64 v[8:9], v[56:57], v[12:13], v[114:115]
	;; [unrolled: 2-line block ×10, first 2 shown]
	v_fma_f64 v[52:53], v[102:103], v[96:97], -v[98:99]
	ds_write_b128 v229, v[18:21]
	ds_write_b128 v229, v[14:17] offset:640
	ds_write_b128 v229, v[4:7] offset:1280
	;; [unrolled: 1-line block ×12, first 2 shown]
.LBB0_3:
	s_or_b32 exec_lo, exec_lo, s1
	s_load_dwordx2 s[0:1], s[4:5], 0x20
	s_waitcnt lgkmcnt(0)
	s_barrier
	buffer_gl0_inv
                                        ; implicit-def: $vgpr20_vgpr21
                                        ; implicit-def: $vgpr32_vgpr33
                                        ; implicit-def: $vgpr44_vgpr45
                                        ; implicit-def: $vgpr28_vgpr29
                                        ; implicit-def: $vgpr24_vgpr25
                                        ; implicit-def: $vgpr8_vgpr9
                                        ; implicit-def: $vgpr4_vgpr5
                                        ; implicit-def: $vgpr12_vgpr13
                                        ; implicit-def: $vgpr16_vgpr17
                                        ; implicit-def: $vgpr48_vgpr49
                                        ; implicit-def: $vgpr52_vgpr53
                                        ; implicit-def: $vgpr40_vgpr41
                                        ; implicit-def: $vgpr36_vgpr37
	s_and_saveexec_b32 s2, vcc_lo
	s_cbranch_execz .LBB0_5
; %bb.4:
	ds_read_b128 v[20:23], v229
	ds_read_b128 v[36:39], v229 offset:640
	ds_read_b128 v[40:43], v229 offset:1280
	;; [unrolled: 1-line block ×12, first 2 shown]
.LBB0_5:
	s_or_b32 exec_lo, exec_lo, s2
	s_waitcnt lgkmcnt(0)
	v_add_f64 v[169:170], v[38:39], -v[6:7]
	v_add_f64 v[165:166], v[36:37], -v[4:5]
	s_mov_b32 s16, 0x4267c47c
	s_mov_b32 s6, 0x42a4c3d2
	;; [unrolled: 1-line block ×6, first 2 shown]
	v_add_f64 v[159:160], v[4:5], v[36:37]
	v_add_f64 v[167:168], v[6:7], v[38:39]
	v_add_f64 v[74:75], v[42:43], -v[10:11]
	v_add_f64 v[155:156], v[40:41], -v[8:9]
	s_mov_b32 s10, 0xe00740e9
	s_mov_b32 s8, 0x1ea71119
	;; [unrolled: 1-line block ×10, first 2 shown]
	v_mul_f64 v[171:172], v[169:170], s[16:17]
	v_mul_f64 v[173:174], v[165:166], s[16:17]
	;; [unrolled: 1-line block ×6, first 2 shown]
	v_add_f64 v[56:57], v[8:9], v[40:41]
	v_add_f64 v[58:59], v[10:11], v[42:43]
	v_add_f64 v[66:67], v[34:35], -v[14:15]
	v_add_f64 v[64:65], v[32:33], -v[12:13]
	v_mul_f64 v[102:103], v[74:75], s[6:7]
	v_mul_f64 v[110:111], v[155:156], s[6:7]
	;; [unrolled: 1-line block ×6, first 2 shown]
	s_mov_b32 s26, 0xb2365da1
	s_mov_b32 s28, 0x93053d00
	;; [unrolled: 1-line block ×6, first 2 shown]
	v_fma_f64 v[0:1], v[159:160], s[10:11], v[171:172]
	v_fma_f64 v[2:3], v[167:168], s[10:11], -v[173:174]
	v_fma_f64 v[76:77], v[159:160], s[8:9], v[175:176]
	v_fma_f64 v[78:79], v[167:168], s[8:9], -v[179:180]
	;; [unrolled: 2-line block ×3, first 2 shown]
	v_add_f64 v[60:61], v[32:33], v[12:13]
	v_add_f64 v[62:63], v[34:35], v[14:15]
	v_add_f64 v[88:89], v[44:45], -v[16:17]
	v_add_f64 v[72:73], v[46:47], -v[18:19]
	v_mul_f64 v[92:93], v[66:67], s[18:19]
	v_mul_f64 v[98:99], v[64:65], s[18:19]
	;; [unrolled: 1-line block ×4, first 2 shown]
	v_fma_f64 v[90:91], v[56:57], s[8:9], v[102:103]
	v_fma_f64 v[96:97], v[58:59], s[8:9], -v[110:111]
	v_fma_f64 v[114:115], v[56:57], s[26:27], v[104:105]
	v_fma_f64 v[116:117], v[58:59], s[26:27], -v[132:133]
	v_mul_f64 v[141:142], v[66:67], s[30:31]
	v_fma_f64 v[118:119], v[56:57], s[28:29], v[136:137]
	v_mul_f64 v[161:162], v[64:65], s[30:31]
	v_fma_f64 v[120:121], v[58:59], s[28:29], -v[177:178]
	v_add_f64 v[0:1], v[20:21], v[0:1]
	v_add_f64 v[2:3], v[22:23], v[2:3]
	;; [unrolled: 1-line block ×6, first 2 shown]
	s_mov_b32 s40, 0x24c2f84
	s_mov_b32 s41, 0x3fe5384d
	;; [unrolled: 1-line block ×4, first 2 shown]
	v_add_f64 v[68:69], v[44:45], v[16:17]
	v_add_f64 v[106:107], v[46:47], v[18:19]
	v_add_f64 v[70:71], v[52:53], -v[24:25]
	v_add_f64 v[86:87], v[54:55], -v[26:27]
	v_mul_f64 v[94:95], v[72:73], s[22:23]
	v_mul_f64 v[112:113], v[88:89], s[22:23]
	v_mul_f64 v[122:123], v[72:73], s[40:41]
	v_fma_f64 v[124:125], v[60:61], s[20:21], v[92:93]
	v_fma_f64 v[126:127], v[62:63], s[20:21], -v[98:99]
	v_fma_f64 v[128:129], v[60:61], s[28:29], v[108:109]
	v_mul_f64 v[151:152], v[88:89], s[40:41]
	v_fma_f64 v[134:135], v[60:61], s[26:27], v[141:142]
	v_add_f64 v[0:1], v[90:91], v[0:1]
	v_add_f64 v[2:3], v[96:97], v[2:3]
	v_fma_f64 v[96:97], v[62:63], s[28:29], -v[130:131]
	v_add_f64 v[76:77], v[114:115], v[76:77]
	v_add_f64 v[78:79], v[116:117], v[78:79]
	;; [unrolled: 1-line block ×3, first 2 shown]
	v_mul_f64 v[157:158], v[72:73], s[38:39]
	v_mul_f64 v[163:164], v[88:89], s[38:39]
	v_fma_f64 v[143:144], v[62:63], s[26:27], -v[161:162]
	v_add_f64 v[82:83], v[120:121], v[82:83]
	s_mov_b32 s34, 0xd0032e0c
	s_mov_b32 s43, 0xbfe5384d
	;; [unrolled: 1-line block ×6, first 2 shown]
	v_add_f64 v[84:85], v[24:25], v[52:53]
	v_add_f64 v[100:101], v[26:27], v[54:55]
	v_add_f64 v[116:117], v[50:51], -v[30:31]
	v_mul_f64 v[114:115], v[86:87], s[42:43]
	v_mul_f64 v[118:119], v[70:71], s[42:43]
	v_fma_f64 v[147:148], v[68:69], s[26:27], v[94:95]
	v_fma_f64 v[185:186], v[106:107], s[26:27], -v[112:113]
	v_add_f64 v[0:1], v[124:125], v[0:1]
	v_add_f64 v[2:3], v[126:127], v[2:3]
	v_add_f64 v[90:91], v[48:49], -v[28:29]
	v_add_f64 v[76:77], v[128:129], v[76:77]
	v_add_f64 v[78:79], v[96:97], v[78:79]
	v_fma_f64 v[126:127], v[68:69], s[34:35], v[122:123]
	v_fma_f64 v[187:188], v[106:107], s[34:35], -v[151:152]
	v_mul_f64 v[128:129], v[86:87], s[36:37]
	v_mul_f64 v[138:139], v[70:71], s[36:37]
	v_add_f64 v[80:81], v[134:135], v[80:81]
	v_fma_f64 v[189:190], v[68:69], s[10:11], v[157:158]
	v_fma_f64 v[191:192], v[106:107], s[10:11], -v[163:164]
	v_mul_f64 v[145:146], v[86:87], s[6:7]
	v_mul_f64 v[149:150], v[70:71], s[6:7]
	v_add_f64 v[82:83], v[143:144], v[82:83]
	v_add_f64 v[96:97], v[28:29], v[48:49]
	;; [unrolled: 1-line block ×3, first 2 shown]
	v_mul_f64 v[120:121], v[116:117], s[24:25]
	v_fma_f64 v[193:194], v[84:85], s[34:35], v[114:115]
	v_fma_f64 v[195:196], v[100:101], s[34:35], -v[118:119]
	v_mul_f64 v[143:144], v[116:117], s[42:43]
	s_load_dwordx2 s[2:3], s[4:5], 0x8
	v_add_f64 v[0:1], v[147:148], v[0:1]
	v_add_f64 v[2:3], v[185:186], v[2:3]
	v_mul_f64 v[124:125], v[90:91], s[24:25]
	v_mul_f64 v[134:135], v[90:91], s[38:39]
	;; [unrolled: 1-line block ×3, first 2 shown]
	v_add_f64 v[76:77], v[126:127], v[76:77]
	v_add_f64 v[78:79], v[187:188], v[78:79]
	v_mul_f64 v[126:127], v[116:117], s[38:39]
	v_fma_f64 v[185:186], v[84:85], s[20:21], v[128:129]
	v_fma_f64 v[187:188], v[100:101], s[20:21], -v[138:139]
	v_add_f64 v[80:81], v[189:190], v[80:81]
	v_mul_lo_u16 v232, v231, 13
	v_fma_f64 v[189:190], v[84:85], s[8:9], v[145:146]
	v_fma_f64 v[197:198], v[100:101], s[8:9], -v[149:150]
	v_add_f64 v[82:83], v[191:192], v[82:83]
	s_waitcnt lgkmcnt(0)
	s_barrier
	v_fma_f64 v[191:192], v[96:97], s[28:29], v[120:121]
	buffer_gl0_inv
	v_fma_f64 v[205:206], v[96:97], s[34:35], v[143:144]
	v_add_f64 v[0:1], v[193:194], v[0:1]
	v_add_f64 v[2:3], v[195:196], v[2:3]
	v_fma_f64 v[199:200], v[153:154], s[28:29], -v[124:125]
	v_fma_f64 v[203:204], v[153:154], s[10:11], -v[134:135]
	;; [unrolled: 1-line block ×3, first 2 shown]
	v_fma_f64 v[201:202], v[96:97], s[10:11], v[126:127]
	v_add_f64 v[76:77], v[185:186], v[76:77]
	v_add_f64 v[78:79], v[187:188], v[78:79]
	v_add_f64 v[185:186], v[189:190], v[80:81]
	v_add_f64 v[187:188], v[197:198], v[82:83]
	v_add_f64 v[0:1], v[191:192], v[0:1]
	v_add_f64 v[2:3], v[199:200], v[2:3]
	v_add_f64 v[80:81], v[201:202], v[76:77]
	v_add_f64 v[82:83], v[203:204], v[78:79]
	v_add_f64 v[76:77], v[205:206], v[185:186]
	v_add_f64 v[78:79], v[207:208], v[187:188]
	s_and_saveexec_b32 s33, vcc_lo
	s_cbranch_execz .LBB0_7
; %bb.6:
	v_add_f64 v[38:39], v[22:23], v[38:39]
	v_add_f64 v[36:37], v[20:21], v[36:37]
	s_mov_b32 s5, 0x3fcea1e5
	s_mov_b32 s4, s24
	;; [unrolled: 1-line block ×4, first 2 shown]
	v_add_f64 v[38:39], v[42:43], v[38:39]
	v_add_f64 v[36:37], v[40:41], v[36:37]
	v_mul_f64 v[40:41], v[167:168], s[26:27]
	v_mul_f64 v[42:43], v[167:168], s[20:21]
	v_add_f64 v[34:35], v[34:35], v[38:39]
	v_add_f64 v[32:33], v[32:33], v[36:37]
	v_mul_f64 v[36:37], v[167:168], s[28:29]
	v_mul_f64 v[38:39], v[167:168], s[34:35]
	v_add_f64 v[42:43], v[183:184], v[42:43]
	v_add_f64 v[34:35], v[46:47], v[34:35]
	;; [unrolled: 1-line block ×3, first 2 shown]
	v_mul_f64 v[44:45], v[169:170], s[24:25]
	v_mul_f64 v[46:47], v[159:160], s[20:21]
	v_fma_f64 v[185:186], v[165:166], s[4:5], v[36:37]
	v_fma_f64 v[36:37], v[165:166], s[24:25], v[36:37]
	v_add_f64 v[42:43], v[22:23], v[42:43]
	v_add_f64 v[34:35], v[54:55], v[34:35]
	;; [unrolled: 1-line block ×3, first 2 shown]
	v_mul_f64 v[52:53], v[169:170], s[42:43]
	v_mul_f64 v[54:55], v[167:168], s[8:9]
	;; [unrolled: 1-line block ×4, first 2 shown]
	v_fma_f64 v[183:184], v[159:160], s[28:29], v[44:45]
	v_fma_f64 v[44:45], v[159:160], s[28:29], -v[44:45]
	v_add_f64 v[46:47], v[46:47], -v[181:182]
	v_add_f64 v[185:186], v[22:23], v[185:186]
	v_add_f64 v[36:37], v[22:23], v[36:37]
	;; [unrolled: 1-line block ×4, first 2 shown]
	v_fma_f64 v[48:49], v[165:166], s[40:41], v[38:39]
	v_fma_f64 v[38:39], v[165:166], s[42:43], v[38:39]
	;; [unrolled: 1-line block ×4, first 2 shown]
	v_mul_f64 v[165:166], v[159:160], s[8:9]
	v_fma_f64 v[181:182], v[159:160], s[34:35], v[52:53]
	v_fma_f64 v[52:53], v[159:160], s[34:35], -v[52:53]
	v_add_f64 v[54:55], v[179:180], v[54:55]
	v_fma_f64 v[179:180], v[159:160], s[26:27], v[169:170]
	v_fma_f64 v[169:170], v[159:160], s[26:27], -v[169:170]
	v_mul_f64 v[159:160], v[159:160], s[10:11]
	v_add_f64 v[167:168], v[173:174], v[167:168]
	v_mul_f64 v[173:174], v[58:59], s[10:11]
	v_add_f64 v[183:184], v[20:21], v[183:184]
	v_add_f64 v[44:45], v[20:21], v[44:45]
	;; [unrolled: 1-line block ×5, first 2 shown]
	v_mul_f64 v[32:33], v[58:59], s[20:21]
	v_mul_f64 v[34:35], v[58:59], s[34:35]
	v_add_f64 v[48:49], v[22:23], v[48:49]
	v_add_f64 v[38:39], v[22:23], v[38:39]
	v_add_f64 v[165:166], v[165:166], -v[175:176]
	v_mul_f64 v[175:176], v[58:59], s[28:29]
	v_add_f64 v[181:182], v[20:21], v[181:182]
	v_add_f64 v[52:53], v[20:21], v[52:53]
	;; [unrolled: 1-line block ×4, first 2 shown]
	v_add_f64 v[159:160], v[159:160], -v[171:172]
	v_mul_f64 v[171:172], v[74:75], s[38:39]
	v_add_f64 v[40:41], v[22:23], v[40:41]
	v_add_f64 v[169:170], v[20:21], v[169:170]
	;; [unrolled: 1-line block ×4, first 2 shown]
	v_fma_f64 v[167:168], v[155:156], s[16:17], v[173:174]
	v_fma_f64 v[173:174], v[155:156], s[38:39], v[173:174]
	v_add_f64 v[26:27], v[26:27], v[30:31]
	v_add_f64 v[24:25], v[24:25], v[28:29]
	v_fma_f64 v[28:29], v[155:156], s[18:19], v[32:33]
	v_fma_f64 v[30:31], v[155:156], s[36:37], v[32:33]
	;; [unrolled: 1-line block ×4, first 2 shown]
	v_add_f64 v[165:166], v[20:21], v[165:166]
	v_add_f64 v[175:176], v[177:178], v[175:176]
	v_mul_f64 v[177:178], v[62:63], s[34:35]
	v_add_f64 v[20:21], v[20:21], v[159:160]
	v_mul_f64 v[159:160], v[74:75], s[36:37]
	v_fma_f64 v[155:156], v[56:57], s[10:11], v[171:172]
	v_fma_f64 v[171:172], v[56:57], s[10:11], -v[171:172]
	v_mul_f64 v[74:75], v[74:75], s[40:41]
	v_add_f64 v[167:168], v[167:168], v[185:186]
	v_add_f64 v[36:37], v[173:174], v[36:37]
	v_mul_f64 v[173:174], v[62:63], s[8:9]
	v_add_f64 v[18:19], v[18:19], v[26:27]
	v_add_f64 v[16:17], v[16:17], v[24:25]
	;; [unrolled: 1-line block ×4, first 2 shown]
	v_mul_f64 v[38:39], v[106:107], s[8:9]
	v_add_f64 v[34:35], v[34:35], v[40:41]
	v_add_f64 v[32:33], v[32:33], v[50:51]
	;; [unrolled: 1-line block ×3, first 2 shown]
	v_fma_f64 v[48:49], v[64:65], s[40:41], v[177:178]
	v_fma_f64 v[177:178], v[64:65], s[42:43], v[177:178]
	v_mul_f64 v[175:176], v[62:63], s[20:21]
	v_mul_f64 v[50:51], v[60:61], s[28:29]
	v_fma_f64 v[185:186], v[56:57], s[20:21], v[159:160]
	v_add_f64 v[155:156], v[155:156], v[183:184]
	v_mul_f64 v[183:184], v[66:67], s[42:43]
	v_add_f64 v[44:45], v[171:172], v[44:45]
	v_mul_f64 v[171:172], v[66:67], s[6:7]
	v_fma_f64 v[159:160], v[56:57], s[20:21], -v[159:160]
	v_mul_f64 v[66:67], v[66:67], s[38:39]
	v_add_f64 v[14:15], v[14:15], v[18:19]
	v_add_f64 v[12:13], v[12:13], v[16:17]
	;; [unrolled: 1-line block ×4, first 2 shown]
	v_mul_f64 v[177:178], v[106:107], s[28:29]
	v_add_f64 v[98:99], v[98:99], v[175:176]
	v_add_f64 v[50:51], v[50:51], -v[108:109]
	v_add_f64 v[181:182], v[185:186], v[181:182]
	v_mul_f64 v[108:109], v[153:154], s[28:29]
	v_fma_f64 v[185:186], v[60:61], s[34:35], v[183:184]
	v_fma_f64 v[183:184], v[60:61], s[34:35], -v[183:184]
	v_fma_f64 v[167:168], v[60:61], s[8:9], v[171:172]
	v_add_f64 v[52:53], v[159:160], v[52:53]
	v_fma_f64 v[159:160], v[64:65], s[44:45], v[173:174]
	v_fma_f64 v[173:174], v[64:65], s[6:7], v[173:174]
	v_fma_f64 v[171:172], v[60:61], s[8:9], -v[171:172]
	v_mul_f64 v[175:176], v[96:97], s[10:11]
	v_add_f64 v[155:156], v[185:186], v[155:156]
	v_mul_f64 v[185:186], v[72:73], s[44:45]
	v_add_f64 v[44:45], v[183:184], v[44:45]
	;; [unrolled: 2-line block ×3, first 2 shown]
	v_fma_f64 v[159:160], v[88:89], s[6:7], v[38:39]
	v_add_f64 v[167:168], v[167:168], v[181:182]
	v_fma_f64 v[38:39], v[88:89], s[44:45], v[38:39]
	v_add_f64 v[30:31], v[173:174], v[30:31]
	v_mul_f64 v[173:174], v[100:101], s[26:27]
	v_add_f64 v[52:53], v[171:172], v[52:53]
	v_fma_f64 v[171:172], v[88:89], s[24:25], v[177:178]
	v_fma_f64 v[177:178], v[88:89], s[4:5], v[177:178]
	v_mul_f64 v[72:73], v[72:73], s[18:19]
	v_fma_f64 v[181:182], v[68:69], s[8:9], v[185:186]
	v_fma_f64 v[185:186], v[68:69], s[8:9], -v[185:186]
	v_add_f64 v[48:49], v[159:160], v[48:49]
	v_fma_f64 v[159:160], v[68:69], s[28:29], v[183:184]
	v_add_f64 v[36:37], v[38:39], v[36:37]
	v_mul_f64 v[38:39], v[100:101], s[10:11]
	v_fma_f64 v[183:184], v[68:69], s[28:29], -v[183:184]
	v_add_f64 v[28:29], v[171:172], v[28:29]
	v_mul_f64 v[171:172], v[86:87], s[38:39]
	v_add_f64 v[30:31], v[177:178], v[30:31]
	v_add_f64 v[155:156], v[181:182], v[155:156]
	v_mul_f64 v[181:182], v[86:87], s[22:23]
	v_add_f64 v[44:45], v[185:186], v[44:45]
	v_fma_f64 v[185:186], v[70:71], s[30:31], v[173:174]
	v_fma_f64 v[173:174], v[70:71], s[22:23], v[173:174]
	v_add_f64 v[159:160], v[159:160], v[167:168]
	v_mul_f64 v[86:87], v[86:87], s[4:5]
	v_fma_f64 v[177:178], v[70:71], s[16:17], v[38:39]
	v_fma_f64 v[38:39], v[70:71], s[38:39], v[38:39]
	v_add_f64 v[52:53], v[183:184], v[52:53]
	v_mul_f64 v[183:184], v[56:57], s[28:29]
	v_fma_f64 v[167:168], v[84:85], s[26:27], v[181:182]
	v_fma_f64 v[181:182], v[84:85], s[26:27], -v[181:182]
	v_add_f64 v[48:49], v[185:186], v[48:49]
	v_fma_f64 v[185:186], v[84:85], s[10:11], v[171:172]
	v_add_f64 v[36:37], v[173:174], v[36:37]
	v_mul_f64 v[173:174], v[62:63], s[26:27]
	v_add_f64 v[177:178], v[177:178], v[28:29]
	v_add_f64 v[30:31], v[38:39], v[30:31]
	v_mul_f64 v[38:39], v[58:59], s[26:27]
	v_mul_f64 v[58:59], v[58:59], s[8:9]
	v_fma_f64 v[28:29], v[56:57], s[34:35], v[74:75]
	v_add_f64 v[136:137], v[183:184], -v[136:137]
	v_mul_f64 v[183:184], v[106:107], s[26:27]
	v_fma_f64 v[171:172], v[84:85], s[10:11], -v[171:172]
	v_add_f64 v[155:156], v[167:168], v[155:156]
	v_mul_f64 v[167:168], v[62:63], s[10:11]
	v_add_f64 v[44:45], v[181:182], v[44:45]
	v_add_f64 v[159:160], v[185:186], v[159:160]
	v_mul_f64 v[185:186], v[56:57], s[8:9]
	v_mul_f64 v[181:182], v[106:107], s[20:21]
	v_add_f64 v[161:162], v[161:162], v[173:174]
	v_mul_f64 v[173:174], v[60:61], s[20:21]
	v_mul_f64 v[62:63], v[62:63], s[28:29]
	v_add_f64 v[58:59], v[110:111], v[58:59]
	v_add_f64 v[38:39], v[132:133], v[38:39]
	;; [unrolled: 1-line block ×3, first 2 shown]
	v_mul_f64 v[132:133], v[68:69], s[10:11]
	v_add_f64 v[46:47], v[136:137], v[46:47]
	v_add_f64 v[112:113], v[112:113], v[183:184]
	v_mul_f64 v[110:111], v[84:85], s[20:21]
	v_mul_f64 v[136:137], v[153:154], s[26:27]
	v_add_f64 v[52:53], v[171:172], v[52:53]
	v_fma_f64 v[40:41], v[64:65], s[38:39], v[167:168]
	v_fma_f64 v[64:65], v[64:65], s[16:17], v[167:168]
	v_mul_f64 v[167:168], v[56:57], s[26:27]
	v_add_f64 v[102:103], v[185:186], -v[102:103]
	v_fma_f64 v[56:57], v[56:57], s[34:35], -v[74:75]
	v_fma_f64 v[179:180], v[88:89], s[36:37], v[181:182]
	v_fma_f64 v[88:89], v[88:89], s[18:19], v[181:182]
	v_mul_f64 v[181:182], v[60:61], s[26:27]
	v_add_f64 v[22:23], v[58:59], v[22:23]
	v_mul_f64 v[74:75], v[106:107], s[10:11]
	v_mul_f64 v[106:107], v[106:107], s[34:35]
	v_add_f64 v[62:63], v[130:131], v[62:63]
	v_add_f64 v[38:39], v[38:39], v[54:55]
	v_add_f64 v[92:93], v[173:174], -v[92:93]
	v_add_f64 v[42:43], v[161:162], v[42:43]
	v_mul_f64 v[161:162], v[100:101], s[34:35]
	v_mul_f64 v[130:131], v[100:101], s[20:21]
	v_add_f64 v[132:133], v[132:133], -v[157:158]
	v_mul_f64 v[157:158], v[100:101], s[8:9]
	v_mul_f64 v[100:101], v[100:101], s[28:29]
	v_mul_f64 v[185:186], v[84:85], s[8:9]
	v_mul_f64 v[58:59], v[153:154], s[10:11]
	v_add_f64 v[34:35], v[40:41], v[34:35]
	v_fma_f64 v[40:41], v[60:61], s[10:11], v[66:67]
	v_add_f64 v[104:105], v[167:168], -v[104:105]
	v_fma_f64 v[60:61], v[60:61], s[10:11], -v[66:67]
	v_mul_f64 v[66:67], v[68:69], s[26:27]
	v_add_f64 v[20:21], v[102:103], v[20:21]
	v_add_f64 v[56:57], v[56:57], v[169:170]
	v_mul_f64 v[169:170], v[68:69], s[34:35]
	v_add_f64 v[141:142], v[181:182], -v[141:142]
	v_add_f64 v[22:23], v[98:99], v[22:23]
	v_add_f64 v[74:75], v[163:164], v[74:75]
	v_mul_f64 v[163:164], v[84:85], s[34:35]
	v_add_f64 v[106:107], v[151:152], v[106:107]
	v_add_f64 v[38:39], v[62:63], v[38:39]
	v_fma_f64 v[98:99], v[68:69], s[20:21], -v[72:73]
	v_add_f64 v[32:33], v[64:65], v[32:33]
	v_mul_f64 v[167:168], v[153:154], s[20:21]
	v_mul_f64 v[181:182], v[96:97], s[28:29]
	;; [unrolled: 1-line block ×5, first 2 shown]
	v_add_f64 v[64:65], v[149:150], v[157:158]
	v_add_f64 v[34:35], v[88:89], v[34:35]
	;; [unrolled: 1-line block ×5, first 2 shown]
	v_add_f64 v[66:67], v[66:67], -v[94:95]
	v_add_f64 v[20:21], v[92:93], v[20:21]
	v_fma_f64 v[40:41], v[70:71], s[4:5], v[100:101]
	v_add_f64 v[122:123], v[169:170], -v[122:123]
	v_add_f64 v[26:27], v[141:142], v[46:47]
	v_add_f64 v[46:47], v[60:61], v[56:57]
	v_fma_f64 v[56:57], v[68:69], s[20:21], v[72:73]
	v_add_f64 v[22:23], v[112:113], v[22:23]
	v_add_f64 v[72:73], v[138:139], v[130:131]
	;; [unrolled: 1-line block ×3, first 2 shown]
	v_add_f64 v[92:93], v[163:164], -v[114:115]
	v_add_f64 v[42:43], v[74:75], v[42:43]
	v_add_f64 v[74:75], v[110:111], -v[128:129]
	v_add_f64 v[68:69], v[185:186], -v[145:146]
	v_fma_f64 v[60:61], v[84:85], s[28:29], -v[86:87]
	v_mul_f64 v[151:152], v[116:117], s[22:23]
	v_mul_f64 v[54:55], v[116:117], s[36:37]
	v_add_f64 v[32:33], v[179:180], v[32:33]
	v_add_f64 v[94:95], v[8:9], v[12:13]
	v_fma_f64 v[169:170], v[90:91], s[30:31], v[136:137]
	v_add_f64 v[24:25], v[50:51], v[104:105]
	v_mul_f64 v[50:51], v[116:117], s[44:45]
	v_fma_f64 v[136:137], v[90:91], s[22:23], v[136:137]
	v_add_f64 v[16:17], v[66:67], v[20:21]
	v_add_f64 v[34:35], v[40:41], v[34:35]
	;; [unrolled: 1-line block ×4, first 2 shown]
	v_fma_f64 v[26:27], v[70:71], s[24:25], v[100:101]
	v_add_f64 v[28:29], v[56:57], v[28:29]
	v_fma_f64 v[56:57], v[90:91], s[44:45], v[153:154]
	v_add_f64 v[70:71], v[175:176], -v[126:127]
	v_add_f64 v[38:39], v[72:73], v[38:39]
	v_add_f64 v[72:73], v[124:125], v[108:109]
	;; [unrolled: 1-line block ×4, first 2 shown]
	v_add_f64 v[64:65], v[173:174], -v[143:144]
	v_fma_f64 v[165:166], v[90:91], s[18:19], v[167:168]
	v_fma_f64 v[183:184], v[96:97], s[26:27], v[151:152]
	v_fma_f64 v[151:152], v[96:97], s[26:27], -v[151:152]
	v_fma_f64 v[62:63], v[96:97], s[20:21], v[54:55]
	v_fma_f64 v[167:168], v[90:91], s[36:37], v[167:168]
	v_fma_f64 v[54:55], v[96:97], s[20:21], -v[54:55]
	v_add_f64 v[18:19], v[122:123], v[24:25]
	v_add_f64 v[24:25], v[98:99], v[46:47]
	v_fma_f64 v[46:47], v[84:85], s[28:29], v[86:87]
	v_add_f64 v[84:85], v[88:89], v[22:23]
	v_add_f64 v[88:89], v[10:11], v[14:15]
	v_add_f64 v[86:87], v[181:182], -v[120:121]
	v_add_f64 v[16:17], v[92:93], v[16:17]
	v_add_f64 v[20:21], v[68:69], v[20:21]
	v_fma_f64 v[40:41], v[96:97], s[8:9], -v[50:51]
	v_fma_f64 v[68:69], v[90:91], s[6:7], v[153:154]
	v_add_f64 v[90:91], v[26:27], v[32:33]
	v_fma_f64 v[50:51], v[96:97], s[8:9], v[50:51]
	v_add_f64 v[4:5], v[4:5], v[94:95]
	v_add_f64 v[22:23], v[56:57], v[34:35]
	;; [unrolled: 1-line block ×20, first 2 shown]
	v_mov_b32_e32 v44, 4
	v_lshlrev_b32_sdwa v44, v44, v232 dst_sel:DWORD dst_unused:UNUSED_PAD src0_sel:DWORD src1_sel:WORD_0
	v_add_f64 v[28:29], v[70:71], v[74:75]
	v_add_f64 v[20:21], v[40:41], v[60:61]
	;; [unrolled: 1-line block ×3, first 2 shown]
	ds_write_b128 v44, v[4:7]
	ds_write_b128 v44, v[32:35] offset:16
	ds_write_b128 v44, v[28:31] offset:32
	;; [unrolled: 1-line block ×12, first 2 shown]
.LBB0_7:
	s_or_b32 exec_lo, exec_lo, s33
	v_and_b32_e32 v4, 0xff, v231
	s_load_dwordx4 s[4:7], s[0:1], 0x0
	s_waitcnt lgkmcnt(0)
	s_barrier
	buffer_gl0_inv
	v_mul_lo_u16 v4, 0x4f, v4
	s_mov_b32 s0, 0x134454ff
	s_mov_b32 s1, 0x3fee6f0e
	;; [unrolled: 1-line block ×4, first 2 shown]
	v_lshrrev_b16 v40, 10, v4
	s_mov_b32 s8, 0x4755a5e
	s_mov_b32 s9, 0x3fe2cf23
	s_mov_b32 s19, 0xbfe2cf23
	s_mov_b32 s18, s8
	v_mul_lo_u16 v4, v40, 13
	s_mov_b32 s10, 0x372fe950
	s_mov_b32 s11, 0x3fd3c6ef
	;; [unrolled: 1-line block ×4, first 2 shown]
	v_sub_nc_u16 v4, v231, v4
	v_and_b32_e32 v41, 0xff, v4
	v_mad_u64_u32 v[24:25], null, 0x90, v41, s[2:3]
	s_clause 0x8
	global_load_dwordx4 v[8:11], v[24:25], off offset:32
	global_load_dwordx4 v[16:19], v[24:25], off offset:64
	;; [unrolled: 1-line block ×4, first 2 shown]
	global_load_dwordx4 v[4:7], v[24:25], off
	global_load_dwordx4 v[36:39], v[24:25], off offset:16
	global_load_dwordx4 v[32:35], v[24:25], off offset:48
	;; [unrolled: 1-line block ×4, first 2 shown]
	ds_read_b128 v[42:45], v229 offset:2496
	ds_read_b128 v[46:49], v229 offset:4160
	;; [unrolled: 1-line block ×9, first 2 shown]
	s_waitcnt vmcnt(8) lgkmcnt(8)
	v_mul_f64 v[74:75], v[44:45], v[10:11]
	s_waitcnt vmcnt(7) lgkmcnt(7)
	v_mul_f64 v[90:91], v[48:49], v[18:19]
	v_mul_f64 v[92:93], v[46:47], v[18:19]
	s_waitcnt vmcnt(6) lgkmcnt(6)
	v_mul_f64 v[94:95], v[52:53], v[14:15]
	v_mul_f64 v[96:97], v[50:51], v[14:15]
	;; [unrolled: 1-line block ×3, first 2 shown]
	s_waitcnt vmcnt(5) lgkmcnt(5)
	v_mul_f64 v[98:99], v[54:55], v[22:23]
	v_mul_f64 v[100:101], v[56:57], v[22:23]
	s_waitcnt vmcnt(4) lgkmcnt(4)
	v_mul_f64 v[102:103], v[60:61], v[6:7]
	v_mul_f64 v[104:105], v[58:59], v[6:7]
	s_waitcnt vmcnt(3) lgkmcnt(3)
	v_mul_f64 v[106:107], v[64:65], v[38:39]
	v_mul_f64 v[108:109], v[62:63], v[38:39]
	s_waitcnt vmcnt(2) lgkmcnt(2)
	v_mul_f64 v[110:111], v[68:69], v[34:35]
	v_mul_f64 v[112:113], v[66:67], v[34:35]
	s_waitcnt vmcnt(1) lgkmcnt(1)
	v_mul_f64 v[114:115], v[72:73], v[30:31]
	v_mul_f64 v[116:117], v[70:71], v[30:31]
	s_waitcnt vmcnt(0) lgkmcnt(0)
	v_mul_f64 v[118:119], v[84:85], v[26:27]
	v_fma_f64 v[74:75], v[42:43], v[8:9], -v[74:75]
	v_fma_f64 v[46:47], v[46:47], v[16:17], -v[90:91]
	v_fma_f64 v[48:49], v[48:49], v[16:17], v[92:93]
	v_fma_f64 v[50:51], v[50:51], v[12:13], -v[94:95]
	v_fma_f64 v[52:53], v[52:53], v[12:13], v[96:97]
	v_fma_f64 v[88:89], v[44:45], v[8:9], v[88:89]
	;; [unrolled: 1-line block ×3, first 2 shown]
	v_fma_f64 v[54:55], v[54:55], v[20:21], -v[100:101]
	v_mul_f64 v[90:91], v[86:87], v[26:27]
	v_fma_f64 v[58:59], v[58:59], v[4:5], -v[102:103]
	v_fma_f64 v[60:61], v[60:61], v[4:5], v[104:105]
	v_fma_f64 v[62:63], v[62:63], v[36:37], -v[106:107]
	v_fma_f64 v[64:65], v[64:65], v[36:37], v[108:109]
	v_fma_f64 v[66:67], v[66:67], v[32:33], -v[110:111]
	v_fma_f64 v[68:69], v[68:69], v[32:33], v[112:113]
	v_fma_f64 v[70:71], v[70:71], v[28:29], -v[114:115]
	v_fma_f64 v[72:73], v[72:73], v[28:29], v[116:117]
	v_fma_f64 v[86:87], v[86:87], v[24:25], v[118:119]
	ds_read_b128 v[42:45], v229
	s_waitcnt lgkmcnt(0)
	s_barrier
	buffer_gl0_inv
	v_add_f64 v[132:133], v[74:75], -v[46:47]
	v_add_f64 v[136:137], v[46:47], -v[74:75]
	v_add_f64 v[92:93], v[46:47], v[50:51]
	v_add_f64 v[94:95], v[48:49], v[52:53]
	v_add_f64 v[108:109], v[48:49], -v[52:53]
	v_add_f64 v[96:97], v[88:89], v[56:57]
	v_add_f64 v[98:99], v[74:75], v[54:55]
	v_fma_f64 v[84:85], v[84:85], v[24:25], -v[90:91]
	v_add_f64 v[106:107], v[88:89], -v[56:57]
	v_add_f64 v[110:111], v[74:75], -v[54:55]
	;; [unrolled: 1-line block ×6, first 2 shown]
	v_add_f64 v[100:101], v[66:67], v[70:71]
	v_add_f64 v[126:127], v[68:69], v[72:73]
	;; [unrolled: 1-line block ×3, first 2 shown]
	v_add_f64 v[143:144], v[56:57], -v[52:53]
	v_add_f64 v[145:146], v[48:49], -v[88:89]
	;; [unrolled: 1-line block ×3, first 2 shown]
	v_add_f64 v[90:91], v[42:43], v[62:63]
	v_add_f64 v[124:125], v[44:45], v[64:65]
	v_add_f64 v[102:103], v[64:65], -v[86:87]
	v_add_f64 v[104:105], v[68:69], -v[72:73]
	v_fma_f64 v[92:93], v[92:93], -0.5, v[58:59]
	v_fma_f64 v[94:95], v[94:95], -0.5, v[60:61]
	v_add_f64 v[114:115], v[62:63], -v[66:67]
	v_fma_f64 v[96:97], v[96:97], -0.5, v[60:61]
	v_fma_f64 v[98:99], v[98:99], -0.5, v[58:59]
	v_add_f64 v[118:119], v[62:63], v[84:85]
	v_add_f64 v[58:59], v[58:59], v[74:75]
	v_add_f64 v[60:61], v[60:61], v[88:89]
	v_add_f64 v[120:121], v[66:67], -v[62:63]
	v_add_f64 v[122:123], v[70:71], -v[84:85]
	;; [unrolled: 1-line block ×4, first 2 shown]
	v_fma_f64 v[74:75], v[100:101], -0.5, v[42:43]
	v_fma_f64 v[88:89], v[126:127], -0.5, v[44:45]
	;; [unrolled: 1-line block ×3, first 2 shown]
	v_add_f64 v[100:101], v[132:133], v[134:135]
	v_add_f64 v[126:127], v[141:142], v[143:144]
	v_add_f64 v[116:117], v[84:85], -v[70:71]
	v_add_f64 v[130:131], v[145:146], v[147:148]
	v_add_f64 v[157:158], v[64:65], -v[68:69]
	v_add_f64 v[64:65], v[68:69], -v[64:65]
	v_add_f64 v[66:67], v[90:91], v[66:67]
	v_fma_f64 v[155:156], v[106:107], s[16:17], v[92:93]
	v_fma_f64 v[149:150], v[110:111], s[16:17], v[94:95]
	;; [unrolled: 1-line block ×8, first 2 shown]
	v_fma_f64 v[42:43], v[118:119], -0.5, v[42:43]
	v_add_f64 v[118:119], v[136:137], v[138:139]
	v_add_f64 v[68:69], v[124:125], v[68:69]
	;; [unrolled: 1-line block ×4, first 2 shown]
	v_add_f64 v[159:160], v[86:87], -v[72:73]
	v_fma_f64 v[58:59], v[102:103], s[0:1], v[74:75]
	v_fma_f64 v[60:61], v[102:103], s[16:17], v[74:75]
	v_add_f64 v[161:162], v[72:73], -v[86:87]
	v_add_f64 v[90:91], v[114:115], v[116:117]
	v_add_f64 v[66:67], v[66:67], v[70:71]
	v_fma_f64 v[138:139], v[108:109], s[18:19], v[155:156]
	v_fma_f64 v[132:133], v[112:113], s[18:19], v[149:150]
	;; [unrolled: 1-line block ×8, first 2 shown]
	v_add_f64 v[106:107], v[120:121], v[122:123]
	v_fma_f64 v[74:75], v[104:105], s[16:17], v[42:43]
	v_fma_f64 v[42:43], v[104:105], s[0:1], v[42:43]
	;; [unrolled: 1-line block ×6, first 2 shown]
	v_add_f64 v[68:69], v[68:69], v[72:73]
	v_add_f64 v[46:47], v[46:47], v[50:51]
	;; [unrolled: 1-line block ×3, first 2 shown]
	v_fma_f64 v[50:51], v[104:105], s[8:9], v[58:59]
	v_fma_f64 v[52:53], v[104:105], s[18:19], v[60:61]
	v_add_f64 v[64:65], v[64:65], v[161:162]
	v_add_f64 v[66:67], v[66:67], v[84:85]
	v_fma_f64 v[120:121], v[100:101], s[10:11], v[138:139]
	v_fma_f64 v[112:113], v[126:127], s[10:11], v[132:133]
	;; [unrolled: 1-line block ×8, first 2 shown]
	v_add_f64 v[100:101], v[157:158], v[159:160]
	v_fma_f64 v[58:59], v[102:103], s[8:9], v[74:75]
	v_fma_f64 v[42:43], v[102:103], s[18:19], v[42:43]
	v_fma_f64 v[60:61], v[128:129], s[18:19], v[108:109]
	v_fma_f64 v[70:71], v[128:129], s[8:9], v[88:89]
	v_fma_f64 v[72:73], v[62:63], s[18:19], v[110:111]
	v_fma_f64 v[44:45], v[62:63], s[8:9], v[44:45]
	v_add_f64 v[68:69], v[68:69], v[86:87]
	v_add_f64 v[46:47], v[46:47], v[54:55]
	;; [unrolled: 1-line block ×3, first 2 shown]
	v_fma_f64 v[84:85], v[90:91], s[10:11], v[50:51]
	v_fma_f64 v[86:87], v[90:91], s[10:11], v[52:53]
	v_mul_f64 v[102:103], v[120:121], s[20:21]
	v_mul_f64 v[62:63], v[112:113], s[8:9]
	;; [unrolled: 1-line block ×8, first 2 shown]
	v_fma_f64 v[90:91], v[106:107], s[10:11], v[58:59]
	v_fma_f64 v[106:107], v[106:107], s[10:11], v[42:43]
	;; [unrolled: 1-line block ×6, first 2 shown]
	v_add_f64 v[42:43], v[66:67], v[46:47]
	v_add_f64 v[44:45], v[68:69], v[48:49]
	v_add_f64 v[46:47], v[66:67], -v[46:47]
	v_add_f64 v[48:49], v[68:69], -v[48:49]
	v_fma_f64 v[70:71], v[92:93], s[20:21], v[62:63]
	v_fma_f64 v[92:93], v[94:95], s[8:9], -v[102:103]
	v_fma_f64 v[94:95], v[112:113], s[20:21], v[104:105]
	v_fma_f64 v[74:75], v[98:99], s[10:11], v[74:75]
	;; [unrolled: 1-line block ×3, first 2 shown]
	v_fma_f64 v[88:89], v[96:97], s[0:1], -v[88:89]
	v_fma_f64 v[102:103], v[116:117], s[16:17], -v[110:111]
	v_fma_f64 v[104:105], v[120:121], s[18:19], -v[118:119]
	v_mov_b32_e32 v108, 0x82
	v_cmp_gt_u16_e64 s0, 26, v231
	v_mul_u32_u24_sdwa v40, v40, v108 dst_sel:DWORD dst_unused:UNUSED_PAD src0_sel:WORD_0 src1_sel:DWORD
	v_add_lshl_u32 v233, v40, v41, 4
	v_add_f64 v[50:51], v[84:85], v[70:71]
	v_add_f64 v[62:63], v[86:87], v[92:93]
	;; [unrolled: 1-line block ×8, first 2 shown]
	v_add_f64 v[66:67], v[84:85], -v[70:71]
	v_add_f64 v[68:69], v[122:123], -v[94:95]
	v_add_f64 v[70:71], v[90:91], -v[74:75]
	v_add_f64 v[72:73], v[72:73], -v[98:99]
	v_add_f64 v[84:85], v[106:107], -v[88:89]
	v_add_f64 v[96:97], v[86:87], -v[92:93]
	v_add_f64 v[86:87], v[124:125], -v[102:103]
	v_add_f64 v[98:99], v[100:101], -v[104:105]
	ds_write_b128 v233, v[42:45]
	ds_write_b128 v233, v[46:49] offset:1040
	ds_write_b128 v233, v[50:53] offset:208
	ds_write_b128 v233, v[54:57] offset:416
	ds_write_b128 v233, v[58:61] offset:624
	ds_write_b128 v233, v[62:65] offset:832
	ds_write_b128 v233, v[66:69] offset:1248
	ds_write_b128 v233, v[70:73] offset:1456
	ds_write_b128 v233, v[84:87] offset:1664
	ds_write_b128 v233, v[96:99] offset:1872
	s_waitcnt lgkmcnt(0)
	s_barrier
	buffer_gl0_inv
	ds_read_b128 v[88:91], v229
	ds_read_b128 v[92:95], v229 offset:832
	ds_read_b128 v[112:115], v229 offset:2080
	;; [unrolled: 1-line block ×7, first 2 shown]
	s_and_saveexec_b32 s1, s0
	s_cbranch_execz .LBB0_9
; %bb.8:
	ds_read_b128 v[84:87], v229 offset:1664
	ds_read_b128 v[96:99], v229 offset:3744
	;; [unrolled: 1-line block ×4, first 2 shown]
.LBB0_9:
	s_or_b32 exec_lo, exec_lo, s1
	v_mad_u64_u32 v[40:41], null, v231, 48, s[2:3]
	v_add_nc_u32_e32 v42, 0x68, v231
	v_subrev_nc_u32_e32 v43, 26, v231
	s_clause 0x2
	global_load_dwordx4 v[52:55], v[40:41], off offset:1904
	global_load_dwordx4 v[56:59], v[40:41], off offset:1888
	;; [unrolled: 1-line block ×3, first 2 shown]
	v_cndmask_b32_e64 v44, v43, v42, s0
	v_add_co_u32 v42, s1, 0x1000, v40
	v_add_co_ci_u32_e64 v43, s1, 0, v41, s1
	v_mul_i32_i24_e32 v45, 48, v44
	v_add_co_u32 v40, s1, 0x1110, v40
	v_mul_hi_i32_i24_e32 v44, 48, v44
	v_add_co_ci_u32_e64 v41, s1, 0, v41, s1
	global_load_dwordx4 v[64:67], v[42:43], off offset:272
	v_add_co_u32 v42, s1, s2, v45
	v_add_co_ci_u32_e64 v43, s1, s3, v44, s1
	s_clause 0x4
	global_load_dwordx4 v[72:75], v[40:41], off offset:16
	global_load_dwordx4 v[68:71], v[40:41], off offset:32
	;; [unrolled: 1-line block ×5, first 2 shown]
	s_waitcnt vmcnt(8) lgkmcnt(1)
	v_mul_f64 v[132:133], v[122:123], v[54:55]
	s_waitcnt vmcnt(7)
	v_mul_f64 v[128:129], v[118:119], v[58:59]
	s_waitcnt vmcnt(6)
	v_mul_f64 v[124:125], v[114:115], v[62:63]
	v_mul_f64 v[126:127], v[112:113], v[62:63]
	;; [unrolled: 1-line block ×4, first 2 shown]
	s_waitcnt vmcnt(5)
	v_mul_f64 v[136:137], v[102:103], v[66:67]
	v_mul_f64 v[138:139], v[100:101], v[66:67]
	s_waitcnt vmcnt(4)
	v_mul_f64 v[141:142], v[106:107], v[74:75]
	v_mul_f64 v[143:144], v[104:105], v[74:75]
	s_waitcnt vmcnt(3) lgkmcnt(0)
	v_mul_f64 v[145:146], v[110:111], v[70:71]
	v_mul_f64 v[147:148], v[108:109], v[70:71]
	s_waitcnt vmcnt(2)
	v_mul_f64 v[149:150], v[98:99], v[50:51]
	v_mul_f64 v[151:152], v[96:97], v[50:51]
	s_waitcnt vmcnt(1)
	;; [unrolled: 3-line block ×3, first 2 shown]
	v_mul_f64 v[157:158], v[82:83], v[42:43]
	v_mul_f64 v[159:160], v[80:81], v[42:43]
	v_fma_f64 v[112:113], v[112:113], v[60:61], -v[124:125]
	v_fma_f64 v[114:115], v[114:115], v[60:61], v[126:127]
	v_fma_f64 v[116:117], v[116:117], v[56:57], -v[128:129]
	v_fma_f64 v[118:119], v[118:119], v[56:57], v[130:131]
	;; [unrolled: 2-line block ×9, first 2 shown]
	v_add_f64 v[116:117], v[88:89], -v[116:117]
	v_add_f64 v[118:119], v[90:91], -v[118:119]
	;; [unrolled: 1-line block ×12, first 2 shown]
	v_fma_f64 v[80:81], v[88:89], 2.0, -v[116:117]
	v_fma_f64 v[82:83], v[90:91], 2.0, -v[118:119]
	;; [unrolled: 1-line block ×4, first 2 shown]
	v_add_f64 v[120:121], v[116:117], -v[120:121]
	v_add_f64 v[122:123], v[118:119], v[124:125]
	v_fma_f64 v[136:137], v[92:93], 2.0, -v[104:105]
	v_fma_f64 v[138:139], v[94:95], 2.0, -v[106:107]
	;; [unrolled: 1-line block ×4, first 2 shown]
	v_add_f64 v[100:101], v[104:105], -v[110:111]
	v_add_f64 v[102:103], v[106:107], v[108:109]
	v_fma_f64 v[84:85], v[84:85], 2.0, -v[132:133]
	v_fma_f64 v[86:87], v[86:87], 2.0, -v[134:135]
	;; [unrolled: 1-line block ×4, first 2 shown]
	v_add_f64 v[124:125], v[80:81], -v[88:89]
	v_add_f64 v[126:127], v[82:83], -v[90:91]
	v_add_f64 v[88:89], v[132:133], -v[78:79]
	v_add_f64 v[90:91], v[134:135], v[76:77]
	v_fma_f64 v[128:129], v[116:117], 2.0, -v[120:121]
	v_fma_f64 v[130:131], v[118:119], 2.0, -v[122:123]
	v_add_f64 v[108:109], v[136:137], -v[92:93]
	v_add_f64 v[110:111], v[138:139], -v[94:95]
	v_fma_f64 v[112:113], v[104:105], 2.0, -v[100:101]
	v_fma_f64 v[114:115], v[106:107], 2.0, -v[102:103]
	v_add_f64 v[92:93], v[84:85], -v[96:97]
	v_add_f64 v[94:95], v[86:87], -v[98:99]
	v_fma_f64 v[76:77], v[80:81], 2.0, -v[124:125]
	v_fma_f64 v[78:79], v[82:83], 2.0, -v[126:127]
	;; [unrolled: 1-line block ×6, first 2 shown]
	ds_write_b128 v229, v[76:79]
	ds_write_b128 v229, v[128:131] offset:2080
	ds_write_b128 v229, v[124:127] offset:4160
	;; [unrolled: 1-line block ×7, first 2 shown]
	v_fma_f64 v[104:105], v[84:85], 2.0, -v[92:93]
	v_fma_f64 v[106:107], v[86:87], 2.0, -v[94:95]
	s_and_saveexec_b32 s1, s0
	s_cbranch_execz .LBB0_11
; %bb.10:
	ds_write_b128 v229, v[104:107] offset:1664
	ds_write_b128 v229, v[96:99] offset:3744
	;; [unrolled: 1-line block ×4, first 2 shown]
.LBB0_11:
	s_or_b32 exec_lo, exec_lo, s1
	s_waitcnt lgkmcnt(0)
	s_barrier
	buffer_gl0_inv
	s_and_saveexec_b32 s8, vcc_lo
	s_cbranch_execz .LBB0_13
; %bb.12:
	s_add_u32 s2, s14, 0x2080
	s_addc_u32 s3, s15, 0
	v_or_b32_e32 v141, 0x1400, v229
	s_clause 0x3
	global_load_dwordx4 v[80:83], v229, s[2:3]
	global_load_dwordx4 v[84:87], v229, s[2:3] offset:640
	global_load_dwordx4 v[132:135], v229, s[2:3] offset:1280
	;; [unrolled: 1-line block ×3, first 2 shown]
	v_add_co_u32 v183, s1, s2, v229
	v_add_co_ci_u32_e64 v184, null, s3, 0, s1
	global_load_dwordx4 v[141:144], v141, s[2:3]
	v_add_co_u32 v173, s1, 0x800, v183
	v_add_co_ci_u32_e64 v174, s1, 0, v184, s1
	v_add_co_u32 v175, s1, 0x1000, v183
	s_clause 0x1
	global_load_dwordx4 v[145:148], v[173:174], off offset:512
	global_load_dwordx4 v[149:152], v[173:174], off offset:1152
	ds_read_b128 v[153:156], v229
	ds_read_b128 v[157:160], v229 offset:640
	ds_read_b128 v[161:164], v229 offset:7680
	;; [unrolled: 1-line block ×3, first 2 shown]
	v_add_co_ci_u32_e64 v176, s1, 0, v184, s1
	v_add_co_u32 v185, s1, 0x1800, v183
	v_add_co_ci_u32_e64 v186, s1, 0, v184, s1
	s_waitcnt vmcnt(6) lgkmcnt(3)
	v_mul_f64 v[169:170], v[155:156], v[82:83]
	v_mul_f64 v[82:83], v[153:154], v[82:83]
	s_waitcnt vmcnt(5) lgkmcnt(2)
	v_mul_f64 v[171:172], v[159:160], v[86:87]
	v_mul_f64 v[86:87], v[157:158], v[86:87]
	v_fma_f64 v[153:154], v[153:154], v[80:81], -v[169:170]
	v_fma_f64 v[155:156], v[155:156], v[80:81], v[82:83]
	ds_read_b128 v[80:83], v229 offset:1920
	s_waitcnt vmcnt(4) lgkmcnt(1)
	v_mul_f64 v[169:170], v[167:168], v[134:135]
	v_mul_f64 v[134:135], v[165:166], v[134:135]
	v_fma_f64 v[157:158], v[157:158], v[84:85], -v[171:172]
	v_fma_f64 v[159:160], v[159:160], v[84:85], v[86:87]
	ds_read_b128 v[84:87], v229 offset:5120
	;; [unrolled: 6-line block ×3, first 2 shown]
	s_waitcnt vmcnt(2) lgkmcnt(1)
	v_mul_f64 v[169:170], v[86:87], v[143:144]
	v_mul_f64 v[143:144], v[84:85], v[143:144]
	v_fma_f64 v[80:81], v[80:81], v[136:137], -v[171:172]
	v_fma_f64 v[82:83], v[82:83], v[136:137], v[138:139]
	global_load_dwordx4 v[136:139], v[175:176], off offset:1664
	v_fma_f64 v[84:85], v[84:85], v[141:142], -v[169:170]
	v_fma_f64 v[86:87], v[86:87], v[141:142], v[143:144]
	ds_read_b128 v[141:144], v229 offset:2560
	ds_read_b128 v[169:172], v229 offset:3200
	s_waitcnt vmcnt(2) lgkmcnt(1)
	v_mul_f64 v[177:178], v[143:144], v[147:148]
	v_mul_f64 v[147:148], v[141:142], v[147:148]
	v_fma_f64 v[141:142], v[141:142], v[145:146], -v[177:178]
	v_fma_f64 v[143:144], v[143:144], v[145:146], v[147:148]
	s_waitcnt vmcnt(1) lgkmcnt(0)
	v_mul_f64 v[177:178], v[171:172], v[151:152]
	global_load_dwordx4 v[145:148], v[173:174], off offset:1792
	v_mul_f64 v[151:152], v[169:170], v[151:152]
	v_fma_f64 v[169:170], v[169:170], v[149:150], -v[177:178]
	v_fma_f64 v[171:172], v[171:172], v[149:150], v[151:152]
	global_load_dwordx4 v[149:152], v[175:176], off offset:384
	ds_read_b128 v[173:176], v229 offset:3840
	ds_read_b128 v[177:180], v229 offset:4480
	s_waitcnt vmcnt(1) lgkmcnt(1)
	v_mul_f64 v[181:182], v[175:176], v[147:148]
	v_mul_f64 v[147:148], v[173:174], v[147:148]
	v_fma_f64 v[173:174], v[173:174], v[145:146], -v[181:182]
	v_fma_f64 v[175:176], v[175:176], v[145:146], v[147:148]
	s_waitcnt vmcnt(0) lgkmcnt(0)
	v_mul_f64 v[145:146], v[179:180], v[151:152]
	v_mul_f64 v[147:148], v[177:178], v[151:152]
	v_fma_f64 v[145:146], v[177:178], v[149:150], -v[145:146]
	v_fma_f64 v[147:148], v[179:180], v[149:150], v[147:148]
	v_mul_f64 v[149:150], v[134:135], v[138:139]
	v_mul_f64 v[138:139], v[132:133], v[138:139]
	v_fma_f64 v[132:133], v[132:133], v[136:137], -v[149:150]
	v_fma_f64 v[134:135], v[134:135], v[136:137], v[138:139]
	s_clause 0x1
	global_load_dwordx4 v[136:139], v[185:186], off offset:256
	global_load_dwordx4 v[149:152], v[185:186], off offset:896
	ds_read_b128 v[177:180], v229 offset:6400
	ds_read_b128 v[181:184], v229 offset:7040
	s_waitcnt vmcnt(1) lgkmcnt(1)
	v_mul_f64 v[187:188], v[179:180], v[138:139]
	v_mul_f64 v[138:139], v[177:178], v[138:139]
	v_fma_f64 v[177:178], v[177:178], v[136:137], -v[187:188]
	v_fma_f64 v[179:180], v[179:180], v[136:137], v[138:139]
	s_waitcnt vmcnt(0) lgkmcnt(0)
	v_mul_f64 v[136:137], v[183:184], v[151:152]
	v_mul_f64 v[138:139], v[181:182], v[151:152]
	v_fma_f64 v[136:137], v[181:182], v[149:150], -v[136:137]
	v_fma_f64 v[138:139], v[183:184], v[149:150], v[138:139]
	global_load_dwordx4 v[149:152], v[185:186], off offset:1536
	s_waitcnt vmcnt(0)
	v_mul_f64 v[181:182], v[163:164], v[151:152]
	v_mul_f64 v[151:152], v[161:162], v[151:152]
	v_fma_f64 v[161:162], v[161:162], v[149:150], -v[181:182]
	v_fma_f64 v[163:164], v[163:164], v[149:150], v[151:152]
	ds_write_b128 v229, v[153:156]
	ds_write_b128 v229, v[157:160] offset:640
	ds_write_b128 v229, v[165:168] offset:1280
	;; [unrolled: 1-line block ×12, first 2 shown]
.LBB0_13:
	s_or_b32 exec_lo, exec_lo, s8
	s_waitcnt lgkmcnt(0)
	s_barrier
	buffer_gl0_inv
	s_and_saveexec_b32 s1, vcc_lo
	s_cbranch_execz .LBB0_15
; %bb.14:
	ds_read_b128 v[76:79], v229
	ds_read_b128 v[128:131], v229 offset:640
	ds_read_b128 v[124:127], v229 offset:1280
	;; [unrolled: 1-line block ×12, first 2 shown]
.LBB0_15:
	s_or_b32 exec_lo, exec_lo, s1
	s_waitcnt lgkmcnt(0)
	v_add_f64 v[179:180], v[130:131], -v[2:3]
	v_add_f64 v[185:186], v[2:3], v[130:131]
	s_mov_b32 s2, 0x1ea71119
	s_mov_b32 s18, 0x42a4c3d2
	;; [unrolled: 1-line block ×8, first 2 shown]
	v_add_f64 v[177:178], v[0:1], v[128:129]
	v_add_f64 v[191:192], v[128:129], -v[0:1]
	v_add_f64 v[143:144], v[126:127], -v[90:91]
	v_add_f64 v[132:133], v[90:91], v[126:127]
	s_mov_b32 s10, 0xb2365da1
	s_mov_b32 s20, 0x2ef20147
	;; [unrolled: 1-line block ×8, first 2 shown]
	v_mul_f64 v[201:202], v[179:180], s[18:19]
	v_mul_f64 v[205:206], v[185:186], s[2:3]
	;; [unrolled: 1-line block ×4, first 2 shown]
	v_add_f64 v[134:135], v[88:89], v[124:125]
	v_add_f64 v[147:148], v[124:125], -v[88:89]
	v_add_f64 v[149:150], v[122:123], -v[94:95]
	v_add_f64 v[136:137], v[122:123], v[94:95]
	s_mov_b32 s37, 0x3fedeba7
	s_mov_b32 s36, s20
	v_add_f64 v[138:139], v[120:121], v[92:93]
	v_add_f64 v[153:154], v[120:121], -v[92:93]
	v_mul_f64 v[183:184], v[143:144], s[20:21]
	v_mul_f64 v[189:190], v[132:133], s[10:11]
	;; [unrolled: 1-line block ×4, first 2 shown]
	v_add_f64 v[145:146], v[118:119], v[98:99]
	v_add_f64 v[157:158], v[118:119], -v[98:99]
	s_mov_b32 s22, 0xd0032e0c
	s_mov_b32 s30, 0x24c2f84
	;; [unrolled: 1-line block ×4, first 2 shown]
	v_fma_f64 v[80:81], v[177:178], s[2:3], -v[201:202]
	v_fma_f64 v[82:83], v[191:192], s[18:19], v[205:206]
	v_fma_f64 v[84:85], v[177:178], s[8:9], -v[203:204]
	v_fma_f64 v[86:87], v[191:192], s[24:25], v[211:212]
	s_mov_b32 s31, 0x3fe5384d
	s_mov_b32 s27, 0x3fec55a7
	v_mul_f64 v[193:194], v[149:150], s[28:29]
	v_mul_f64 v[195:196], v[136:137], s[16:17]
	;; [unrolled: 1-line block ×4, first 2 shown]
	s_mov_b32 s41, 0x3fddbe06
	s_mov_b32 s40, 0x4267c47c
	v_fma_f64 v[155:156], v[134:135], s[10:11], -v[183:184]
	v_fma_f64 v[161:162], v[147:148], s[20:21], v[189:190]
	v_fma_f64 v[163:164], v[134:135], s[16:17], -v[169:170]
	v_fma_f64 v[167:168], v[147:148], s[28:29], v[171:172]
	v_add_f64 v[141:142], v[116:117], v[96:97]
	v_add_f64 v[159:160], v[116:117], -v[96:97]
	v_add_f64 v[151:152], v[106:107], v[114:115]
	v_add_f64 v[165:166], v[114:115], -v[106:107]
	v_mul_f64 v[207:208], v[157:158], s[30:31]
	v_mul_f64 v[213:214], v[145:146], s[22:23]
	v_add_f64 v[80:81], v[76:77], v[80:81]
	v_add_f64 v[82:83], v[78:79], v[82:83]
	;; [unrolled: 1-line block ×4, first 2 shown]
	v_mul_f64 v[197:198], v[157:158], s[40:41]
	v_mul_f64 v[199:200], v[145:146], s[26:27]
	v_fma_f64 v[175:176], v[138:139], s[16:17], -v[193:194]
	v_fma_f64 v[217:218], v[153:154], s[28:29], v[195:196]
	v_fma_f64 v[219:220], v[138:139], s[10:11], -v[181:182]
	v_fma_f64 v[225:226], v[153:154], s[36:37], v[187:188]
	s_mov_b32 s35, 0x3fefc445
	s_mov_b32 s34, s24
	v_add_f64 v[173:174], v[112:113], -v[104:105]
	s_mov_b32 s39, 0xbfe5384d
	s_mov_b32 s38, s30
	s_barrier
	buffer_gl0_inv
	v_mul_f64 v[223:224], v[151:152], s[8:9]
	v_mul_f64 v[221:222], v[165:166], s[34:35]
	;; [unrolled: 1-line block ×4, first 2 shown]
	v_add_f64 v[80:81], v[155:156], v[80:81]
	v_add_f64 v[82:83], v[161:162], v[82:83]
	;; [unrolled: 1-line block ×6, first 2 shown]
	v_add_f64 v[167:168], v[110:111], -v[102:103]
	v_fma_f64 v[234:235], v[141:142], s[22:23], -v[207:208]
	v_fma_f64 v[236:237], v[159:160], s[30:31], v[213:214]
	v_fma_f64 v[238:239], v[141:142], s[26:27], -v[197:198]
	v_fma_f64 v[240:241], v[159:160], s[40:41], v[199:200]
	v_add_f64 v[163:164], v[100:101], v[108:109]
	v_fma_f64 v[244:245], v[173:174], s[34:35], v[223:224]
	v_fma_f64 v[248:249], v[173:174], s[18:19], v[215:216]
	v_add_f64 v[80:81], v[175:176], v[80:81]
	v_add_f64 v[82:83], v[217:218], v[82:83]
	;; [unrolled: 1-line block ×4, first 2 shown]
	v_add_f64 v[175:176], v[108:109], -v[100:101]
	v_mul_f64 v[227:228], v[161:162], s[26:27]
	v_mul_f64 v[225:226], v[167:168], s[40:41]
	;; [unrolled: 1-line block ×4, first 2 shown]
	v_fma_f64 v[242:243], v[155:156], s[8:9], -v[221:222]
	v_fma_f64 v[246:247], v[155:156], s[2:3], -v[209:210]
	v_add_f64 v[80:81], v[234:235], v[80:81]
	v_add_f64 v[82:83], v[236:237], v[82:83]
	;; [unrolled: 1-line block ×4, first 2 shown]
	v_fma_f64 v[236:237], v[175:176], s[40:41], v[227:228]
	v_fma_f64 v[234:235], v[163:164], s[26:27], -v[225:226]
	v_fma_f64 v[238:239], v[163:164], s[22:23], -v[217:218]
	v_fma_f64 v[240:241], v[175:176], s[38:39], v[219:220]
	v_add_f64 v[80:81], v[242:243], v[80:81]
	v_add_f64 v[82:83], v[244:245], v[82:83]
	;; [unrolled: 1-line block ×8, first 2 shown]
	s_and_saveexec_b32 s1, vcc_lo
	s_cbranch_execz .LBB0_17
; %bb.16:
	v_add_f64 v[130:131], v[78:79], v[130:131]
	v_add_f64 v[128:129], v[76:77], v[128:129]
	v_mul_f64 v[240:241], v[175:176], s[34:35]
	v_mul_f64 v[242:243], v[167:168], s[34:35]
	v_add_f64 v[126:127], v[126:127], v[130:131]
	v_add_f64 v[124:125], v[124:125], v[128:129]
	v_mul_f64 v[128:129], v[179:180], s[28:29]
	v_mul_f64 v[130:131], v[179:180], s[38:39]
	v_add_f64 v[122:123], v[122:123], v[126:127]
	v_add_f64 v[120:121], v[120:121], v[124:125]
	;; [unrolled: 1-line block ×6, first 2 shown]
	v_mul_f64 v[116:117], v[153:154], s[40:41]
	v_mul_f64 v[118:119], v[149:150], s[40:41]
	v_add_f64 v[110:111], v[110:111], v[114:115]
	v_add_f64 v[108:109], v[108:109], v[112:113]
	v_mul_f64 v[112:113], v[173:174], s[40:41]
	v_mul_f64 v[114:115], v[165:166], s[40:41]
	v_add_f64 v[102:103], v[102:103], v[110:111]
	v_add_f64 v[100:101], v[100:101], v[108:109]
	v_mul_f64 v[108:109], v[191:192], s[20:21]
	v_add_f64 v[102:103], v[106:107], v[102:103]
	v_add_f64 v[100:101], v[104:105], v[100:101]
	v_mul_f64 v[104:105], v[191:192], s[28:29]
	v_mul_f64 v[106:107], v[191:192], s[38:39]
	v_fma_f64 v[124:125], v[185:186], s[10:11], v[108:109]
	v_fma_f64 v[108:109], v[185:186], s[10:11], -v[108:109]
	v_add_f64 v[98:99], v[98:99], v[102:103]
	v_add_f64 v[96:97], v[96:97], v[100:101]
	v_mul_f64 v[100:101], v[159:160], s[40:41]
	v_mul_f64 v[102:103], v[175:176], s[40:41]
	v_fma_f64 v[120:121], v[185:186], s[16:17], v[104:105]
	v_fma_f64 v[104:105], v[185:186], s[16:17], -v[104:105]
	v_fma_f64 v[122:123], v[185:186], s[22:23], v[106:107]
	v_fma_f64 v[106:107], v[185:186], s[22:23], -v[106:107]
	v_add_f64 v[124:125], v[78:79], v[124:125]
	v_add_f64 v[94:95], v[94:95], v[98:99]
	;; [unrolled: 1-line block ×3, first 2 shown]
	v_mul_f64 v[96:97], v[147:148], s[40:41]
	v_mul_f64 v[98:99], v[143:144], s[40:41]
	s_mov_b32 s41, 0xbfddbe06
	v_add_f64 v[120:121], v[78:79], v[120:121]
	v_mul_f64 v[110:111], v[191:192], s[40:41]
	v_add_f64 v[104:105], v[78:79], v[104:105]
	v_add_f64 v[122:123], v[78:79], v[122:123]
	v_add_f64 v[102:103], v[227:228], -v[102:103]
	v_add_f64 v[100:101], v[199:200], -v[100:101]
	v_add_f64 v[90:91], v[90:91], v[94:95]
	v_add_f64 v[88:89], v[88:89], v[92:93]
	v_mul_f64 v[92:93], v[177:178], s[2:3]
	v_mul_f64 v[94:95], v[177:178], s[8:9]
	v_fma_f64 v[126:127], v[185:186], s[26:27], -v[110:111]
	v_fma_f64 v[110:111], v[185:186], s[26:27], v[110:111]
	v_mul_f64 v[185:186], v[179:180], s[20:21]
	v_mul_f64 v[179:180], v[179:180], s[40:41]
	s_mov_b32 s41, 0x3fea55e2
	s_mov_b32 s40, s18
	v_mul_f64 v[199:200], v[175:176], s[40:41]
	v_add_f64 v[2:3], v[2:3], v[90:91]
	v_add_f64 v[0:1], v[0:1], v[88:89]
	v_mul_f64 v[88:89], v[191:192], s[24:25]
	v_mul_f64 v[90:91], v[191:192], s[18:19]
	v_add_f64 v[92:93], v[92:93], v[201:202]
	v_add_f64 v[94:95], v[94:95], v[203:204]
	v_fma_f64 v[191:192], v[177:178], s[16:17], -v[128:129]
	v_fma_f64 v[128:129], v[177:178], s[16:17], v[128:129]
	v_fma_f64 v[201:202], v[177:178], s[22:23], -v[130:131]
	v_fma_f64 v[130:131], v[177:178], s[22:23], v[130:131]
	;; [unrolled: 2-line block ×3, first 2 shown]
	v_add_f64 v[126:127], v[78:79], v[126:127]
	v_add_f64 v[236:237], v[78:79], v[110:111]
	v_add_f64 v[88:89], v[211:212], -v[88:89]
	v_add_f64 v[90:91], v[205:206], -v[90:91]
	v_fma_f64 v[205:206], v[177:178], s[26:27], v[179:180]
	v_fma_f64 v[177:178], v[177:178], s[26:27], -v[179:180]
	v_add_f64 v[179:180], v[76:77], v[191:192]
	v_add_f64 v[128:129], v[76:77], v[128:129]
	;; [unrolled: 1-line block ×11, first 2 shown]
	v_mul_f64 v[88:89], v[153:154], s[38:39]
	v_add_f64 v[205:206], v[76:77], v[205:206]
	v_add_f64 v[177:178], v[76:77], v[177:178]
	v_fma_f64 v[76:77], v[132:133], s[26:27], v[96:97]
	v_add_f64 v[211:212], v[78:79], v[90:91]
	v_fma_f64 v[78:79], v[134:135], s[26:27], -v[98:99]
	v_fma_f64 v[96:97], v[132:133], s[26:27], -v[96:97]
	v_fma_f64 v[98:99], v[134:135], s[26:27], v[98:99]
	v_fma_f64 v[90:91], v[136:137], s[22:23], v[88:89]
	v_fma_f64 v[88:89], v[136:137], s[22:23], -v[88:89]
	v_add_f64 v[76:77], v[76:77], v[120:121]
	v_add_f64 v[78:79], v[78:79], v[179:180]
	v_add_f64 v[96:97], v[96:97], v[104:105]
	v_add_f64 v[98:99], v[98:99], v[128:129]
	v_mul_f64 v[104:105], v[138:139], s[16:17]
	v_mul_f64 v[128:129], v[153:154], s[24:25]
	v_add_f64 v[76:77], v[90:91], v[76:77]
	v_mul_f64 v[90:91], v[149:150], s[38:39]
	v_add_f64 v[88:89], v[88:89], v[96:97]
	v_fma_f64 v[96:97], v[163:164], s[8:9], v[242:243]
	v_add_f64 v[104:105], v[104:105], v[193:194]
	v_mul_f64 v[193:194], v[147:148], s[30:31]
	v_fma_f64 v[94:95], v[138:139], s[22:23], -v[90:91]
	v_fma_f64 v[90:91], v[138:139], s[22:23], v[90:91]
	v_add_f64 v[78:79], v[94:95], v[78:79]
	v_mul_f64 v[94:95], v[159:160], s[40:41]
	v_add_f64 v[90:91], v[90:91], v[98:99]
	v_mul_f64 v[98:99], v[153:154], s[28:29]
	v_fma_f64 v[110:111], v[145:146], s[2:3], v[94:95]
	v_fma_f64 v[94:95], v[145:146], s[2:3], -v[94:95]
	v_add_f64 v[98:99], v[195:196], -v[98:99]
	v_mul_f64 v[195:196], v[143:144], s[30:31]
	v_add_f64 v[76:77], v[110:111], v[76:77]
	v_mul_f64 v[110:111], v[157:158], s[40:41]
	v_add_f64 v[88:89], v[94:95], v[88:89]
	v_fma_f64 v[120:121], v[141:142], s[2:3], -v[110:111]
	v_fma_f64 v[94:95], v[141:142], s[2:3], v[110:111]
	v_mul_f64 v[110:111], v[159:160], s[30:31]
	v_add_f64 v[78:79], v[120:121], v[78:79]
	v_mul_f64 v[120:121], v[173:174], s[20:21]
	v_add_f64 v[90:91], v[94:95], v[90:91]
	v_add_f64 v[110:111], v[213:214], -v[110:111]
	v_fma_f64 v[179:180], v[151:152], s[10:11], v[120:121]
	v_fma_f64 v[94:95], v[151:152], s[10:11], -v[120:121]
	v_mul_f64 v[120:121], v[141:142], s[22:23]
	v_add_f64 v[76:77], v[179:180], v[76:77]
	v_mul_f64 v[179:180], v[165:166], s[20:21]
	v_add_f64 v[88:89], v[94:95], v[88:89]
	v_add_f64 v[120:121], v[120:121], v[207:208]
	v_fma_f64 v[94:95], v[155:156], s[10:11], v[179:180]
	v_fma_f64 v[238:239], v[155:156], s[10:11], -v[179:180]
	v_mul_f64 v[179:180], v[157:158], s[20:21]
	v_add_f64 v[94:95], v[94:95], v[90:91]
	v_fma_f64 v[90:91], v[161:162], s[8:9], -v[240:241]
	v_add_f64 v[238:239], v[238:239], v[78:79]
	v_fma_f64 v[78:79], v[161:162], s[8:9], v[240:241]
	v_add_f64 v[90:91], v[90:91], v[88:89]
	v_add_f64 v[88:89], v[96:97], v[94:95]
	v_mul_f64 v[94:95], v[147:148], s[20:21]
	v_mul_f64 v[96:97], v[134:135], s[10:11]
	v_add_f64 v[78:79], v[78:79], v[76:77]
	v_fma_f64 v[76:77], v[163:164], s[8:9], -v[242:243]
	v_add_f64 v[94:95], v[189:190], -v[94:95]
	v_add_f64 v[96:97], v[96:97], v[183:184]
	v_mul_f64 v[183:184], v[165:166], s[38:39]
	v_mul_f64 v[189:190], v[167:168], s[28:29]
	v_add_f64 v[76:77], v[76:77], v[238:239]
	v_add_f64 v[94:95], v[94:95], v[211:212]
	;; [unrolled: 1-line block ×3, first 2 shown]
	v_mul_f64 v[96:97], v[173:174], s[34:35]
	v_add_f64 v[94:95], v[98:99], v[94:95]
	v_add_f64 v[92:93], v[104:105], v[92:93]
	v_mul_f64 v[98:99], v[155:156], s[8:9]
	v_add_f64 v[96:97], v[223:224], -v[96:97]
	v_mul_f64 v[104:105], v[163:164], s[26:27]
	v_add_f64 v[94:95], v[110:111], v[94:95]
	v_add_f64 v[92:93], v[120:121], v[92:93]
	;; [unrolled: 1-line block ×3, first 2 shown]
	v_mul_f64 v[110:111], v[141:142], s[26:27]
	v_add_f64 v[104:105], v[104:105], v[225:226]
	v_mul_f64 v[120:121], v[173:174], s[18:19]
	v_add_f64 v[94:95], v[96:97], v[94:95]
	;; [unrolled: 2-line block ×4, first 2 shown]
	v_add_f64 v[120:121], v[215:216], -v[120:121]
	v_mul_f64 v[197:198], v[157:158], s[24:25]
	v_add_f64 v[94:95], v[102:103], v[94:95]
	v_add_f64 v[96:97], v[171:172], -v[96:97]
	v_add_f64 v[92:93], v[104:105], v[92:93]
	v_add_f64 v[98:99], v[98:99], v[169:170]
	v_mul_f64 v[102:103], v[153:154], s[36:37]
	v_mul_f64 v[104:105], v[138:139], s[10:11]
	;; [unrolled: 1-line block ×5, first 2 shown]
	v_add_f64 v[96:97], v[96:97], v[108:109]
	v_mul_f64 v[108:109], v[155:156], s[2:3]
	v_add_f64 v[98:99], v[98:99], v[234:235]
	v_add_f64 v[102:103], v[187:188], -v[102:103]
	v_add_f64 v[104:105], v[104:105], v[181:182]
	v_mul_f64 v[181:182], v[173:174], s[38:39]
	v_mul_f64 v[187:188], v[175:176], s[28:29]
	s_mov_b32 s29, 0x3fcea1e5
	v_mul_f64 v[173:174], v[173:174], s[28:29]
	v_mul_f64 v[165:166], v[165:166], s[28:29]
	;; [unrolled: 1-line block ×3, first 2 shown]
	v_add_f64 v[108:109], v[108:109], v[209:210]
	v_add_f64 v[96:97], v[102:103], v[96:97]
	;; [unrolled: 1-line block ×3, first 2 shown]
	v_mul_f64 v[102:103], v[175:176], s[38:39]
	v_mul_f64 v[175:176], v[175:176], s[20:21]
	v_add_f64 v[96:97], v[100:101], v[96:97]
	v_add_f64 v[98:99], v[110:111], v[98:99]
	v_mul_f64 v[100:101], v[163:164], s[22:23]
	v_add_f64 v[102:103], v[219:220], -v[102:103]
	v_add_f64 v[96:97], v[120:121], v[96:97]
	v_add_f64 v[104:105], v[108:109], v[98:99]
	;; [unrolled: 1-line block ×3, first 2 shown]
	v_mul_f64 v[120:121], v[147:148], s[18:19]
	v_fma_f64 v[108:109], v[136:137], s[26:27], -v[116:117]
	v_mul_f64 v[147:148], v[147:148], s[34:35]
	v_fma_f64 v[116:117], v[136:137], s[26:27], v[116:117]
	v_add_f64 v[98:99], v[102:103], v[96:97]
	v_add_f64 v[96:97], v[100:101], v[104:105]
	v_fma_f64 v[100:101], v[132:133], s[2:3], -v[120:121]
	v_fma_f64 v[104:105], v[136:137], s[8:9], -v[128:129]
	v_fma_f64 v[120:121], v[132:133], s[2:3], v[120:121]
	v_add_f64 v[100:101], v[100:101], v[126:127]
	v_mul_f64 v[126:127], v[143:144], s[18:19]
	v_mul_f64 v[143:144], v[143:144], s[34:35]
	v_add_f64 v[120:121], v[120:121], v[236:237]
	v_add_f64 v[100:101], v[104:105], v[100:101]
	v_fma_f64 v[102:103], v[134:135], s[2:3], v[126:127]
	v_fma_f64 v[104:105], v[138:139], s[8:9], v[169:170]
	v_fma_f64 v[110:111], v[134:135], s[8:9], v[143:144]
	v_fma_f64 v[143:144], v[134:135], s[8:9], -v[143:144]
	v_add_f64 v[102:103], v[102:103], v[205:206]
	v_mul_f64 v[205:206], v[167:168], s[40:41]
	v_add_f64 v[110:111], v[110:111], v[130:131]
	v_mul_f64 v[130:131], v[153:154], s[18:19]
	;; [unrolled: 2-line block ×3, first 2 shown]
	v_add_f64 v[102:103], v[104:105], v[102:103]
	v_fma_f64 v[104:105], v[145:146], s[10:11], -v[171:172]
	v_fma_f64 v[153:154], v[136:137], s[2:3], -v[130:131]
	v_fma_f64 v[130:131], v[136:137], s[2:3], v[130:131]
	v_add_f64 v[100:101], v[104:105], v[100:101]
	v_fma_f64 v[104:105], v[141:142], s[10:11], v[179:180]
	v_add_f64 v[102:103], v[104:105], v[102:103]
	v_fma_f64 v[104:105], v[151:152], s[22:23], -v[181:182]
	v_add_f64 v[100:101], v[104:105], v[100:101]
	v_fma_f64 v[104:105], v[155:156], s[22:23], v[183:184]
	v_add_f64 v[104:105], v[104:105], v[102:103]
	v_fma_f64 v[102:103], v[161:162], s[16:17], -v[187:188]
	;; [unrolled: 4-line block ×3, first 2 shown]
	v_add_f64 v[104:105], v[104:105], v[106:107]
	v_fma_f64 v[106:107], v[134:135], s[22:23], v[195:196]
	v_add_f64 v[104:105], v[108:109], v[104:105]
	v_add_f64 v[106:107], v[106:107], v[185:186]
	v_fma_f64 v[108:109], v[138:139], s[26:27], v[118:119]
	v_mul_f64 v[185:186], v[159:160], s[24:25]
	v_fma_f64 v[118:119], v[138:139], s[26:27], -v[118:119]
	v_add_f64 v[106:107], v[108:109], v[106:107]
	v_fma_f64 v[108:109], v[145:146], s[8:9], -v[185:186]
	v_add_f64 v[104:105], v[108:109], v[104:105]
	v_fma_f64 v[108:109], v[141:142], s[8:9], v[197:198]
	v_add_f64 v[106:107], v[108:109], v[106:107]
	v_fma_f64 v[108:109], v[151:152], s[16:17], -v[173:174]
	v_add_f64 v[104:105], v[108:109], v[104:105]
	v_fma_f64 v[108:109], v[155:156], s[16:17], v[165:166]
	;; [unrolled: 4-line block ×3, first 2 shown]
	v_add_f64 v[104:105], v[104:105], v[108:109]
	v_fma_f64 v[108:109], v[132:133], s[8:9], -v[147:148]
	v_fma_f64 v[147:148], v[132:133], s[8:9], v[147:148]
	v_add_f64 v[108:109], v[108:109], v[201:202]
	v_add_f64 v[122:123], v[147:148], v[122:123]
	;; [unrolled: 1-line block ×3, first 2 shown]
	v_fma_f64 v[153:154], v[138:139], s[2:3], v[149:150]
	v_add_f64 v[122:123], v[130:131], v[122:123]
	v_fma_f64 v[130:131], v[138:139], s[2:3], -v[149:150]
	v_add_f64 v[110:111], v[153:154], v[110:111]
	v_mul_f64 v[153:154], v[159:160], s[28:29]
	v_add_f64 v[130:131], v[130:131], v[143:144]
	v_fma_f64 v[159:160], v[145:146], s[16:17], -v[153:154]
	v_fma_f64 v[143:144], v[145:146], s[16:17], v[153:154]
	v_add_f64 v[108:109], v[159:160], v[108:109]
	v_fma_f64 v[159:160], v[141:142], s[16:17], v[157:158]
	v_add_f64 v[122:123], v[143:144], v[122:123]
	v_add_f64 v[110:111], v[159:160], v[110:111]
	v_fma_f64 v[159:160], v[151:152], s[26:27], -v[112:113]
	v_fma_f64 v[112:113], v[151:152], s[26:27], v[112:113]
	v_add_f64 v[108:109], v[159:160], v[108:109]
	v_add_f64 v[112:113], v[112:113], v[122:123]
	v_fma_f64 v[122:123], v[141:142], s[16:17], -v[157:158]
	v_fma_f64 v[159:160], v[155:156], s[26:27], v[114:115]
	v_fma_f64 v[114:115], v[155:156], s[26:27], -v[114:115]
	v_add_f64 v[122:123], v[122:123], v[130:131]
	v_fma_f64 v[130:131], v[163:164], s[10:11], -v[167:168]
	v_add_f64 v[159:160], v[159:160], v[110:111]
	;; [unrolled: 2-line block ×3, first 2 shown]
	v_fma_f64 v[114:115], v[161:162], s[10:11], v[175:176]
	v_add_f64 v[110:111], v[110:111], v[108:109]
	v_fma_f64 v[108:109], v[163:164], s[10:11], v[167:168]
	v_add_f64 v[114:115], v[114:115], v[112:113]
	v_add_f64 v[112:113], v[130:131], v[122:123]
	v_fma_f64 v[122:123], v[132:133], s[22:23], v[193:194]
	v_add_f64 v[108:109], v[108:109], v[159:160]
	v_add_f64 v[122:123], v[122:123], v[124:125]
	v_fma_f64 v[124:125], v[134:135], s[22:23], -v[195:196]
	v_add_f64 v[116:117], v[116:117], v[122:123]
	v_add_f64 v[124:125], v[124:125], v[203:204]
	v_fma_f64 v[122:123], v[145:146], s[8:9], v[185:186]
	v_add_f64 v[118:119], v[118:119], v[124:125]
	v_add_f64 v[116:117], v[122:123], v[116:117]
	v_fma_f64 v[122:123], v[141:142], s[8:9], -v[197:198]
	v_fma_f64 v[124:125], v[163:164], s[2:3], -v[205:206]
	v_add_f64 v[118:119], v[122:123], v[118:119]
	v_fma_f64 v[122:123], v[151:152], s[16:17], v[173:174]
	v_add_f64 v[116:117], v[122:123], v[116:117]
	v_fma_f64 v[122:123], v[155:156], s[16:17], -v[165:166]
	v_add_f64 v[122:123], v[122:123], v[118:119]
	v_fma_f64 v[118:119], v[161:162], s[2:3], v[199:200]
	v_add_f64 v[118:119], v[118:119], v[116:117]
	v_add_f64 v[116:117], v[124:125], v[122:123]
	v_fma_f64 v[122:123], v[134:135], s[2:3], -v[126:127]
	v_fma_f64 v[124:125], v[136:137], s[8:9], v[128:129]
	v_fma_f64 v[126:127], v[138:139], s[8:9], -v[169:170]
	v_fma_f64 v[128:129], v[145:146], s[10:11], v[171:172]
	v_add_f64 v[122:123], v[122:123], v[177:178]
	v_add_f64 v[120:121], v[124:125], v[120:121]
	v_fma_f64 v[124:125], v[141:142], s[10:11], -v[179:180]
	v_add_f64 v[122:123], v[126:127], v[122:123]
	v_fma_f64 v[126:127], v[151:152], s[22:23], v[181:182]
	v_add_f64 v[120:121], v[128:129], v[120:121]
	v_fma_f64 v[128:129], v[155:156], s[22:23], -v[183:184]
	v_add_f64 v[122:123], v[124:125], v[122:123]
	v_fma_f64 v[124:125], v[161:162], s[16:17], v[187:188]
	v_add_f64 v[120:121], v[126:127], v[120:121]
	v_fma_f64 v[126:127], v[163:164], s[16:17], -v[189:190]
	v_add_f64 v[128:129], v[128:129], v[122:123]
	v_add_f64 v[122:123], v[124:125], v[120:121]
	v_mov_b32_e32 v124, 4
	v_lshlrev_b32_sdwa v124, v124, v232 dst_sel:DWORD dst_unused:UNUSED_PAD src0_sel:DWORD src1_sel:WORD_0
	v_add_f64 v[120:121], v[126:127], v[128:129]
	ds_write_b128 v124, v[0:3]
	ds_write_b128 v124, v[100:103] offset:16
	ds_write_b128 v124, v[92:95] offset:32
	;; [unrolled: 1-line block ×12, first 2 shown]
.LBB0_17:
	s_or_b32 exec_lo, exec_lo, s1
	s_waitcnt lgkmcnt(0)
	s_barrier
	buffer_gl0_inv
	ds_read_b128 v[0:3], v229 offset:2496
	ds_read_b128 v[76:79], v229 offset:4160
	;; [unrolled: 1-line block ×9, first 2 shown]
	ds_read_b128 v[116:119], v229
	s_mov_b32 s10, 0x134454ff
	s_mov_b32 s11, 0xbfee6f0e
	;; [unrolled: 1-line block ×10, first 2 shown]
	s_waitcnt lgkmcnt(9)
	v_mul_f64 v[120:121], v[10:11], v[0:1]
	s_waitcnt lgkmcnt(8)
	v_mul_f64 v[122:123], v[18:19], v[76:77]
	;; [unrolled: 2-line block ×5, first 2 shown]
	v_mul_f64 v[10:11], v[10:11], v[2:3]
	v_mul_f64 v[18:19], v[18:19], v[78:79]
	;; [unrolled: 1-line block ×4, first 2 shown]
	s_waitcnt lgkmcnt(3)
	v_mul_f64 v[132:133], v[34:35], v[106:107]
	v_mul_f64 v[34:35], v[34:35], v[104:105]
	s_waitcnt lgkmcnt(1)
	v_mul_f64 v[136:137], v[26:27], v[112:113]
	v_mul_f64 v[26:27], v[26:27], v[114:115]
	;; [unrolled: 1-line block ×7, first 2 shown]
	s_mov_b32 s20, 0x9b97f4a8
	s_mov_b32 s21, 0x3fe9e377
	;; [unrolled: 1-line block ×4, first 2 shown]
	v_fma_f64 v[2:3], v[8:9], v[2:3], -v[120:121]
	v_fma_f64 v[78:79], v[16:17], v[78:79], -v[122:123]
	v_fma_f64 v[90:91], v[12:13], v[90:91], -v[124:125]
	v_fma_f64 v[94:95], v[20:21], v[94:95], -v[126:127]
	s_mov_b32 s25, 0xbfe9e377
	v_fma_f64 v[0:1], v[8:9], v[0:1], v[10:11]
	v_fma_f64 v[16:17], v[16:17], v[76:77], v[18:19]
	;; [unrolled: 1-line block ×4, first 2 shown]
	v_fma_f64 v[20:21], v[4:5], v[98:99], -v[128:129]
	v_fma_f64 v[10:11], v[32:33], v[106:107], -v[34:35]
	;; [unrolled: 1-line block ×3, first 2 shown]
	v_fma_f64 v[18:19], v[24:25], v[112:113], v[26:27]
	v_fma_f64 v[100:101], v[36:37], v[100:101], v[130:131]
	v_fma_f64 v[36:37], v[36:37], v[102:103], -v[38:39]
	v_fma_f64 v[8:9], v[32:33], v[104:105], v[132:133]
	v_fma_f64 v[32:33], v[28:29], v[108:109], v[134:135]
	v_fma_f64 v[28:29], v[28:29], v[110:111], -v[30:31]
	v_fma_f64 v[4:5], v[4:5], v[96:97], v[6:7]
	s_mov_b32 s24, s20
	s_waitcnt lgkmcnt(0)
	s_barrier
	buffer_gl0_inv
	v_add_f64 v[128:129], v[2:3], -v[78:79]
	v_add_f64 v[22:23], v[78:79], v[90:91]
	v_add_f64 v[24:25], v[2:3], v[94:95]
	v_add_f64 v[126:127], v[2:3], -v[94:95]
	v_add_f64 v[130:131], v[94:95], -v[90:91]
	v_add_f64 v[136:137], v[78:79], -v[90:91]
	v_add_f64 v[92:93], v[16:17], v[12:13]
	v_add_f64 v[96:97], v[0:1], v[14:15]
	v_add_f64 v[98:99], v[0:1], -v[14:15]
	v_add_f64 v[102:103], v[16:17], -v[12:13]
	;; [unrolled: 1-line block ×4, first 2 shown]
	v_add_f64 v[6:7], v[116:117], v[100:101]
	v_add_f64 v[104:105], v[100:101], v[18:19]
	v_add_f64 v[76:77], v[100:101], -v[8:9]
	v_add_f64 v[26:27], v[8:9], v[32:33]
	v_add_f64 v[88:89], v[18:19], -v[32:33]
	v_add_f64 v[112:113], v[10:11], v[28:29]
	v_add_f64 v[124:125], v[36:37], v[34:35]
	;; [unrolled: 1-line block ×4, first 2 shown]
	v_add_f64 v[30:31], v[36:37], -v[34:35]
	v_add_f64 v[38:39], v[10:11], -v[28:29]
	v_fma_f64 v[22:23], v[22:23], -0.5, v[20:21]
	v_fma_f64 v[24:25], v[24:25], -0.5, v[20:21]
	v_add_f64 v[106:107], v[8:9], -v[100:101]
	v_add_f64 v[108:109], v[32:33], -v[18:19]
	;; [unrolled: 1-line block ×3, first 2 shown]
	v_fma_f64 v[92:93], v[92:93], -0.5, v[4:5]
	v_fma_f64 v[96:97], v[96:97], -0.5, v[4:5]
	v_add_f64 v[4:5], v[4:5], v[0:1]
	v_add_f64 v[114:115], v[8:9], -v[32:33]
	v_add_f64 v[145:146], v[0:1], -v[16:17]
	;; [unrolled: 1-line block ×3, first 2 shown]
	v_add_f64 v[6:7], v[6:7], v[8:9]
	v_fma_f64 v[8:9], v[104:105], -0.5, v[116:117]
	v_add_f64 v[104:105], v[128:129], v[130:131]
	v_fma_f64 v[20:21], v[26:27], -0.5, v[116:117]
	;; [unrolled: 2-line block ×3, first 2 shown]
	v_fma_f64 v[88:89], v[124:125], -0.5, v[118:119]
	v_add_f64 v[0:1], v[16:17], -v[0:1]
	v_add_f64 v[149:150], v[12:13], -v[14:15]
	v_add_f64 v[112:113], v[132:133], v[134:135]
	v_add_f64 v[120:121], v[36:37], -v[10:11]
	v_fma_f64 v[141:142], v[98:99], s[8:9], v[22:23]
	v_fma_f64 v[143:144], v[102:103], s[10:11], v[24:25]
	;; [unrolled: 1-line block ×4, first 2 shown]
	v_add_f64 v[36:37], v[10:11], -v[36:37]
	v_fma_f64 v[116:117], v[126:127], s[10:11], v[92:93]
	v_fma_f64 v[118:119], v[136:137], s[8:9], v[96:97]
	;; [unrolled: 1-line block ×4, first 2 shown]
	v_add_f64 v[10:11], v[110:111], v[10:11]
	v_add_f64 v[4:5], v[4:5], v[16:17]
	;; [unrolled: 1-line block ×3, first 2 shown]
	v_add_f64 v[122:123], v[34:35], -v[28:29]
	v_add_f64 v[16:17], v[145:146], v[147:148]
	v_fma_f64 v[78:79], v[30:31], s[10:11], v[20:21]
	v_add_f64 v[138:139], v[28:29], -v[34:35]
	v_fma_f64 v[20:21], v[30:31], s[8:9], v[20:21]
	v_add_f64 v[6:7], v[6:7], v[32:33]
	v_add_f64 v[0:1], v[0:1], v[149:150]
	v_fma_f64 v[124:125], v[102:103], s[18:19], v[141:142]
	v_fma_f64 v[128:129], v[98:99], s[18:19], v[143:144]
	;; [unrolled: 1-line block ×4, first 2 shown]
	v_add_f64 v[98:99], v[106:107], v[108:109]
	v_fma_f64 v[102:103], v[38:39], s[8:9], v[8:9]
	v_fma_f64 v[8:9], v[38:39], s[10:11], v[8:9]
	;; [unrolled: 1-line block ×10, first 2 shown]
	v_add_f64 v[10:11], v[10:11], v[28:29]
	v_add_f64 v[4:5], v[4:5], v[12:13]
	v_add_f64 v[2:3], v[2:3], v[90:91]
	v_fma_f64 v[12:13], v[38:39], s[16:17], v[78:79]
	v_add_f64 v[36:37], v[36:37], v[138:139]
	v_fma_f64 v[20:21], v[38:39], s[18:19], v[20:21]
	v_add_f64 v[6:7], v[6:7], v[18:19]
	v_fma_f64 v[118:119], v[104:105], s[2:3], v[124:125]
	v_fma_f64 v[124:125], v[112:113], s[2:3], v[128:129]
	;; [unrolled: 1-line block ×4, first 2 shown]
	v_add_f64 v[104:105], v[120:121], v[122:123]
	v_fma_f64 v[28:29], v[30:31], s[16:17], v[102:103]
	v_fma_f64 v[8:9], v[30:31], s[18:19], v[8:9]
	;; [unrolled: 1-line block ×10, first 2 shown]
	v_add_f64 v[18:19], v[10:11], v[34:35]
	v_add_f64 v[4:5], v[4:5], v[14:15]
	;; [unrolled: 1-line block ×3, first 2 shown]
	v_fma_f64 v[34:35], v[26:27], s[2:3], v[12:13]
	v_fma_f64 v[94:95], v[26:27], s[2:3], v[20:21]
	v_mul_f64 v[90:91], v[118:119], s[16:17]
	v_mul_f64 v[102:103], v[118:119], s[20:21]
	;; [unrolled: 1-line block ×8, first 2 shown]
	v_fma_f64 v[110:111], v[104:105], s[2:3], v[30:31]
	v_fma_f64 v[104:105], v[104:105], s[2:3], v[32:33]
	;; [unrolled: 1-line block ×6, first 2 shown]
	v_add_f64 v[8:9], v[6:7], v[4:5]
	v_add_f64 v[10:11], v[18:19], v[2:3]
	v_add_f64 v[12:13], v[6:7], -v[4:5]
	v_add_f64 v[14:15], v[18:19], -v[2:3]
	v_fma_f64 v[32:33], v[78:79], s[20:21], v[90:91]
	v_fma_f64 v[78:79], v[78:79], s[18:19], v[102:103]
	;; [unrolled: 1-line block ×8, first 2 shown]
	v_add_f64 v[16:17], v[34:35], v[32:33]
	v_add_f64 v[18:19], v[110:111], v[78:79]
	;; [unrolled: 1-line block ×8, first 2 shown]
	v_add_f64 v[32:33], v[34:35], -v[32:33]
	v_add_f64 v[34:35], v[110:111], -v[78:79]
	;; [unrolled: 1-line block ×8, first 2 shown]
	ds_write_b128 v233, v[8:11]
	ds_write_b128 v233, v[12:15] offset:1040
	ds_write_b128 v233, v[16:19] offset:208
	;; [unrolled: 1-line block ×9, first 2 shown]
	s_waitcnt lgkmcnt(0)
	s_barrier
	buffer_gl0_inv
	ds_read_b128 v[8:11], v229
	ds_read_b128 v[12:15], v229 offset:832
	ds_read_b128 v[28:31], v229 offset:2080
	;; [unrolled: 1-line block ×7, first 2 shown]
	s_and_saveexec_b32 s1, s0
	s_cbranch_execz .LBB0_19
; %bb.18:
	ds_read_b128 v[0:3], v229 offset:1664
	ds_read_b128 v[4:7], v229 offset:3744
	;; [unrolled: 1-line block ×4, first 2 shown]
.LBB0_19:
	s_or_b32 exec_lo, exec_lo, s1
	s_waitcnt lgkmcnt(5)
	v_mul_f64 v[76:77], v[62:63], v[30:31]
	v_mul_f64 v[62:63], v[62:63], v[28:29]
	s_waitcnt lgkmcnt(3)
	v_mul_f64 v[78:79], v[58:59], v[34:35]
	v_mul_f64 v[58:59], v[58:59], v[32:33]
	s_waitcnt lgkmcnt(1)
	v_mul_f64 v[88:89], v[54:55], v[38:39]
	v_mul_f64 v[54:55], v[54:55], v[36:37]
	v_mul_f64 v[90:91], v[66:67], v[18:19]
	v_mul_f64 v[66:67], v[66:67], v[16:17]
	;; [unrolled: 1-line block ×4, first 2 shown]
	s_waitcnt lgkmcnt(0)
	v_mul_f64 v[94:95], v[70:71], v[26:27]
	v_mul_f64 v[70:71], v[70:71], v[24:25]
	v_fma_f64 v[28:29], v[60:61], v[28:29], v[76:77]
	v_fma_f64 v[30:31], v[60:61], v[30:31], -v[62:63]
	v_fma_f64 v[32:33], v[56:57], v[32:33], v[78:79]
	v_fma_f64 v[34:35], v[56:57], v[34:35], -v[58:59]
	;; [unrolled: 2-line block ×6, first 2 shown]
	v_add_f64 v[32:33], v[8:9], -v[32:33]
	v_add_f64 v[34:35], v[10:11], -v[34:35]
	;; [unrolled: 1-line block ×8, first 2 shown]
	v_fma_f64 v[56:57], v[8:9], 2.0, -v[32:33]
	v_fma_f64 v[58:59], v[10:11], 2.0, -v[34:35]
	;; [unrolled: 1-line block ×4, first 2 shown]
	v_add_f64 v[8:9], v[32:33], v[38:39]
	v_add_f64 v[10:11], v[34:35], -v[36:37]
	v_fma_f64 v[60:61], v[12:13], 2.0, -v[52:53]
	v_fma_f64 v[62:63], v[14:15], 2.0, -v[54:55]
	;; [unrolled: 1-line block ×4, first 2 shown]
	v_add_f64 v[12:13], v[52:53], v[22:23]
	v_add_f64 v[14:15], v[54:55], -v[20:21]
	v_add_f64 v[16:17], v[56:57], -v[24:25]
	;; [unrolled: 1-line block ×3, first 2 shown]
	v_fma_f64 v[24:25], v[32:33], 2.0, -v[8:9]
	v_fma_f64 v[26:27], v[34:35], 2.0, -v[10:11]
	v_add_f64 v[20:21], v[60:61], -v[28:29]
	v_add_f64 v[22:23], v[62:63], -v[30:31]
	v_fma_f64 v[28:29], v[52:53], 2.0, -v[12:13]
	v_fma_f64 v[30:31], v[54:55], 2.0, -v[14:15]
	;; [unrolled: 1-line block ×6, first 2 shown]
	ds_write_b128 v229, v[8:11] offset:6240
	ds_write_b128 v229, v[24:27] offset:2080
	;; [unrolled: 1-line block ×5, first 2 shown]
	ds_write_b128 v229, v[32:35]
	ds_write_b128 v229, v[36:39] offset:832
	ds_write_b128 v229, v[12:15] offset:7072
	s_and_saveexec_b32 s1, s0
	s_cbranch_execz .LBB0_21
; %bb.20:
	v_mul_f64 v[8:9], v[46:47], v[80:81]
	v_mul_f64 v[10:11], v[50:51], v[6:7]
	;; [unrolled: 1-line block ×6, first 2 shown]
	v_fma_f64 v[8:9], v[44:45], v[82:83], -v[8:9]
	v_fma_f64 v[4:5], v[48:49], v[4:5], v[10:11]
	v_fma_f64 v[6:7], v[48:49], v[6:7], -v[12:13]
	v_fma_f64 v[10:11], v[40:41], v[86:87], -v[14:15]
	v_fma_f64 v[12:13], v[44:45], v[80:81], v[16:17]
	v_fma_f64 v[14:15], v[40:41], v[84:85], v[18:19]
	v_add_f64 v[8:9], v[2:3], -v[8:9]
	v_add_f64 v[10:11], v[6:7], -v[10:11]
	;; [unrolled: 1-line block ×4, first 2 shown]
	v_fma_f64 v[16:17], v[2:3], 2.0, -v[8:9]
	v_fma_f64 v[6:7], v[6:7], 2.0, -v[10:11]
	;; [unrolled: 1-line block ×4, first 2 shown]
	v_add_f64 v[2:3], v[8:9], -v[14:15]
	v_add_f64 v[0:1], v[12:13], v[10:11]
	v_add_f64 v[6:7], v[16:17], -v[6:7]
	v_add_f64 v[4:5], v[18:19], -v[4:5]
	v_fma_f64 v[10:11], v[8:9], 2.0, -v[2:3]
	v_fma_f64 v[8:9], v[12:13], 2.0, -v[0:1]
	;; [unrolled: 1-line block ×4, first 2 shown]
	ds_write_b128 v229, v[8:11] offset:3744
	ds_write_b128 v229, v[4:7] offset:5824
	;; [unrolled: 1-line block ×4, first 2 shown]
.LBB0_21:
	s_or_b32 exec_lo, exec_lo, s1
	s_waitcnt lgkmcnt(0)
	s_barrier
	buffer_gl0_inv
	s_and_b32 exec_lo, exec_lo, vcc_lo
	s_cbranch_execz .LBB0_23
; %bb.22:
	v_add_co_u32 v32, s0, s14, v229
	v_add_co_ci_u32_e64 v33, null, s15, 0, s0
	global_load_dwordx4 v[0:3], v229, s[14:15]
	v_add_co_u32 v24, vcc_lo, 0x800, v32
	v_add_co_ci_u32_e32 v25, vcc_lo, 0, v33, vcc_lo
	s_clause 0x1
	global_load_dwordx4 v[4:7], v229, s[14:15] offset:640
	global_load_dwordx4 v[8:11], v229, s[14:15] offset:1280
	v_lshlrev_b32_e32 v28, 4, v230
	v_add_co_u32 v36, vcc_lo, 0x1000, v32
	s_clause 0x4
	global_load_dwordx4 v[12:15], v229, s[14:15] offset:1920
	global_load_dwordx4 v[16:19], v[24:25], off offset:512
	global_load_dwordx4 v[20:23], v[24:25], off offset:1152
	;; [unrolled: 1-line block ×3, first 2 shown]
	global_load_dwordx4 v[28:31], v28, s[14:15]
	v_add_co_ci_u32_e32 v37, vcc_lo, 0, v33, vcc_lo
	v_add_co_u32 v48, vcc_lo, 0x1800, v32
	v_add_co_ci_u32_e32 v49, vcc_lo, 0, v33, vcc_lo
	s_clause 0x4
	global_load_dwordx4 v[32:35], v[36:37], off offset:384
	global_load_dwordx4 v[36:39], v[36:37], off offset:1664
	;; [unrolled: 1-line block ×5, first 2 shown]
	v_mad_u64_u32 v[52:53], null, s6, v140, 0
	v_mad_u64_u32 v[54:55], null, s4, v231, 0
	s_mul_i32 s0, s5, 0x280
	s_mul_hi_u32 s1, s4, 0x280
	s_mul_i32 s2, s4, 0x280
	s_add_i32 s3, s1, s0
	v_mad_u64_u32 v[120:121], null, s4, v230, 0
	v_mad_u64_u32 v[56:57], null, s7, v140, v[53:54]
	s_mov_b32 s0, 0x1f81f820
	s_mov_b32 s1, 0x3f5f81f8
	v_mov_b32_e32 v68, v121
	v_mad_u64_u32 v[57:58], null, s5, v231, v[55:56]
	v_mov_b32_e32 v53, v56
	v_mad_u64_u32 v[92:93], null, s5, v230, v[68:69]
	v_lshlrev_b64 v[52:53], 4, v[52:53]
	v_mov_b32_e32 v55, v57
	v_mov_b32_e32 v121, v92
	v_lshlrev_b64 v[54:55], 4, v[54:55]
	v_add_co_u32 v152, vcc_lo, s12, v52
	v_add_co_ci_u32_e32 v153, vcc_lo, s13, v53, vcc_lo
	v_lshlrev_b64 v[120:121], 4, v[120:121]
	v_add_co_u32 v104, vcc_lo, v152, v54
	v_add_co_ci_u32_e32 v105, vcc_lo, v153, v55, vcc_lo
	ds_read_b128 v[52:55], v229
	ds_read_b128 v[56:59], v229 offset:640
	v_add_co_u32 v106, vcc_lo, v104, s2
	v_add_co_ci_u32_e32 v107, vcc_lo, s3, v105, vcc_lo
	ds_read_b128 v[60:63], v229 offset:1280
	ds_read_b128 v[64:67], v229 offset:1920
	v_add_co_u32 v108, vcc_lo, v106, s2
	v_add_co_ci_u32_e32 v109, vcc_lo, s3, v107, vcc_lo
	ds_read_b128 v[68:71], v229 offset:2560
	ds_read_b128 v[72:75], v229 offset:3200
	v_add_co_u32 v110, vcc_lo, v108, s2
	v_add_co_ci_u32_e32 v111, vcc_lo, s3, v109, vcc_lo
	v_add_co_u32 v112, vcc_lo, v110, s2
	v_add_co_ci_u32_e32 v113, vcc_lo, s3, v111, vcc_lo
	;; [unrolled: 2-line block ×5, first 2 shown]
	v_mad_u64_u32 v[122:123], null, 0x500, s4, v[118:119]
	v_mov_b32_e32 v76, v123
	v_mad_u64_u32 v[123:124], null, 0x500, s5, v[76:77]
	ds_read_b128 v[76:79], v229 offset:3840
	ds_read_b128 v[80:83], v229 offset:4480
	ds_read_b128 v[84:87], v229 offset:5120
	ds_read_b128 v[88:91], v229 offset:5760
	ds_read_b128 v[92:95], v229 offset:6400
	ds_read_b128 v[96:99], v229 offset:7040
	ds_read_b128 v[100:103], v229 offset:7680
	v_add_co_u32 v124, vcc_lo, v122, s2
	v_add_co_ci_u32_e32 v125, vcc_lo, s3, v123, vcc_lo
	s_waitcnt vmcnt(12) lgkmcnt(12)
	v_mul_f64 v[126:127], v[54:55], v[2:3]
	v_mul_f64 v[2:3], v[52:53], v[2:3]
	s_waitcnt vmcnt(11) lgkmcnt(11)
	v_mul_f64 v[128:129], v[58:59], v[6:7]
	v_mul_f64 v[6:7], v[56:57], v[6:7]
	;; [unrolled: 3-line block ×5, first 2 shown]
	v_mul_f64 v[136:137], v[70:71], v[18:19]
	v_mul_f64 v[18:19], v[68:69], v[18:19]
	;; [unrolled: 1-line block ×6, first 2 shown]
	s_waitcnt vmcnt(4)
	v_mul_f64 v[142:143], v[82:83], v[34:35]
	v_mul_f64 v[34:35], v[80:81], v[34:35]
	s_waitcnt vmcnt(3) lgkmcnt(3)
	v_mul_f64 v[144:145], v[90:91], v[38:39]
	v_mul_f64 v[38:39], v[88:89], v[38:39]
	s_waitcnt vmcnt(2) lgkmcnt(2)
	;; [unrolled: 3-line block ×4, first 2 shown]
	v_mul_f64 v[150:151], v[102:103], v[50:51]
	v_mul_f64 v[50:51], v[100:101], v[50:51]
	v_fma_f64 v[52:53], v[52:53], v[0:1], v[126:127]
	v_fma_f64 v[2:3], v[0:1], v[54:55], -v[2:3]
	v_fma_f64 v[54:55], v[56:57], v[4:5], v[128:129]
	v_fma_f64 v[6:7], v[4:5], v[58:59], -v[6:7]
	;; [unrolled: 2-line block ×13, first 2 shown]
	v_mul_f64 v[0:1], v[52:53], s[0:1]
	v_mul_f64 v[2:3], v[2:3], s[0:1]
	;; [unrolled: 1-line block ×26, first 2 shown]
	v_add_co_u32 v52, vcc_lo, v124, s2
	v_add_co_ci_u32_e32 v53, vcc_lo, s3, v125, vcc_lo
	v_add_co_u32 v54, vcc_lo, v152, v120
	v_add_co_ci_u32_e32 v55, vcc_lo, v153, v121, vcc_lo
	;; [unrolled: 2-line block ×3, first 2 shown]
	global_store_dwordx4 v[104:105], v[0:3], off
	global_store_dwordx4 v[106:107], v[4:7], off
	;; [unrolled: 1-line block ×13, first 2 shown]
.LBB0_23:
	s_endpgm
	.section	.rodata,"a",@progbits
	.p2align	6, 0x0
	.amdhsa_kernel bluestein_single_fwd_len520_dim1_dp_op_CI_CI
		.amdhsa_group_segment_fixed_size 8320
		.amdhsa_private_segment_fixed_size 0
		.amdhsa_kernarg_size 104
		.amdhsa_user_sgpr_count 6
		.amdhsa_user_sgpr_private_segment_buffer 1
		.amdhsa_user_sgpr_dispatch_ptr 0
		.amdhsa_user_sgpr_queue_ptr 0
		.amdhsa_user_sgpr_kernarg_segment_ptr 1
		.amdhsa_user_sgpr_dispatch_id 0
		.amdhsa_user_sgpr_flat_scratch_init 0
		.amdhsa_user_sgpr_private_segment_size 0
		.amdhsa_wavefront_size32 1
		.amdhsa_uses_dynamic_stack 0
		.amdhsa_system_sgpr_private_segment_wavefront_offset 0
		.amdhsa_system_sgpr_workgroup_id_x 1
		.amdhsa_system_sgpr_workgroup_id_y 0
		.amdhsa_system_sgpr_workgroup_id_z 0
		.amdhsa_system_sgpr_workgroup_info 0
		.amdhsa_system_vgpr_workitem_id 0
		.amdhsa_next_free_vgpr 250
		.amdhsa_next_free_sgpr 46
		.amdhsa_reserve_vcc 1
		.amdhsa_reserve_flat_scratch 0
		.amdhsa_float_round_mode_32 0
		.amdhsa_float_round_mode_16_64 0
		.amdhsa_float_denorm_mode_32 3
		.amdhsa_float_denorm_mode_16_64 3
		.amdhsa_dx10_clamp 1
		.amdhsa_ieee_mode 1
		.amdhsa_fp16_overflow 0
		.amdhsa_workgroup_processor_mode 1
		.amdhsa_memory_ordered 1
		.amdhsa_forward_progress 0
		.amdhsa_shared_vgpr_count 0
		.amdhsa_exception_fp_ieee_invalid_op 0
		.amdhsa_exception_fp_denorm_src 0
		.amdhsa_exception_fp_ieee_div_zero 0
		.amdhsa_exception_fp_ieee_overflow 0
		.amdhsa_exception_fp_ieee_underflow 0
		.amdhsa_exception_fp_ieee_inexact 0
		.amdhsa_exception_int_div_zero 0
	.end_amdhsa_kernel
	.text
.Lfunc_end0:
	.size	bluestein_single_fwd_len520_dim1_dp_op_CI_CI, .Lfunc_end0-bluestein_single_fwd_len520_dim1_dp_op_CI_CI
                                        ; -- End function
	.section	.AMDGPU.csdata,"",@progbits
; Kernel info:
; codeLenInByte = 17604
; NumSgprs: 48
; NumVgprs: 250
; ScratchSize: 0
; MemoryBound: 0
; FloatMode: 240
; IeeeMode: 1
; LDSByteSize: 8320 bytes/workgroup (compile time only)
; SGPRBlocks: 5
; VGPRBlocks: 31
; NumSGPRsForWavesPerEU: 48
; NumVGPRsForWavesPerEU: 250
; Occupancy: 4
; WaveLimiterHint : 1
; COMPUTE_PGM_RSRC2:SCRATCH_EN: 0
; COMPUTE_PGM_RSRC2:USER_SGPR: 6
; COMPUTE_PGM_RSRC2:TRAP_HANDLER: 0
; COMPUTE_PGM_RSRC2:TGID_X_EN: 1
; COMPUTE_PGM_RSRC2:TGID_Y_EN: 0
; COMPUTE_PGM_RSRC2:TGID_Z_EN: 0
; COMPUTE_PGM_RSRC2:TIDIG_COMP_CNT: 0
	.text
	.p2alignl 6, 3214868480
	.fill 48, 4, 3214868480
	.type	__hip_cuid_9a88ed09d60c3c7d,@object ; @__hip_cuid_9a88ed09d60c3c7d
	.section	.bss,"aw",@nobits
	.globl	__hip_cuid_9a88ed09d60c3c7d
__hip_cuid_9a88ed09d60c3c7d:
	.byte	0                               ; 0x0
	.size	__hip_cuid_9a88ed09d60c3c7d, 1

	.ident	"AMD clang version 19.0.0git (https://github.com/RadeonOpenCompute/llvm-project roc-6.4.0 25133 c7fe45cf4b819c5991fe208aaa96edf142730f1d)"
	.section	".note.GNU-stack","",@progbits
	.addrsig
	.addrsig_sym __hip_cuid_9a88ed09d60c3c7d
	.amdgpu_metadata
---
amdhsa.kernels:
  - .args:
      - .actual_access:  read_only
        .address_space:  global
        .offset:         0
        .size:           8
        .value_kind:     global_buffer
      - .actual_access:  read_only
        .address_space:  global
        .offset:         8
        .size:           8
        .value_kind:     global_buffer
      - .actual_access:  read_only
        .address_space:  global
        .offset:         16
        .size:           8
        .value_kind:     global_buffer
      - .actual_access:  read_only
        .address_space:  global
        .offset:         24
        .size:           8
        .value_kind:     global_buffer
      - .actual_access:  read_only
        .address_space:  global
        .offset:         32
        .size:           8
        .value_kind:     global_buffer
      - .offset:         40
        .size:           8
        .value_kind:     by_value
      - .address_space:  global
        .offset:         48
        .size:           8
        .value_kind:     global_buffer
      - .address_space:  global
        .offset:         56
        .size:           8
        .value_kind:     global_buffer
      - .address_space:  global
        .offset:         64
        .size:           8
        .value_kind:     global_buffer
      - .address_space:  global
        .offset:         72
        .size:           8
        .value_kind:     global_buffer
      - .offset:         80
        .size:           4
        .value_kind:     by_value
      - .address_space:  global
        .offset:         88
        .size:           8
        .value_kind:     global_buffer
      - .address_space:  global
        .offset:         96
        .size:           8
        .value_kind:     global_buffer
    .group_segment_fixed_size: 8320
    .kernarg_segment_align: 8
    .kernarg_segment_size: 104
    .language:       OpenCL C
    .language_version:
      - 2
      - 0
    .max_flat_workgroup_size: 52
    .name:           bluestein_single_fwd_len520_dim1_dp_op_CI_CI
    .private_segment_fixed_size: 0
    .sgpr_count:     48
    .sgpr_spill_count: 0
    .symbol:         bluestein_single_fwd_len520_dim1_dp_op_CI_CI.kd
    .uniform_work_group_size: 1
    .uses_dynamic_stack: false
    .vgpr_count:     250
    .vgpr_spill_count: 0
    .wavefront_size: 32
    .workgroup_processor_mode: 1
amdhsa.target:   amdgcn-amd-amdhsa--gfx1030
amdhsa.version:
  - 1
  - 2
...

	.end_amdgpu_metadata
